;; amdgpu-corpus repo=ROCm/rocFFT kind=compiled arch=gfx906 opt=O3
	.text
	.amdgcn_target "amdgcn-amd-amdhsa--gfx906"
	.amdhsa_code_object_version 6
	.protected	fft_rtc_back_len450_factors_10_5_3_3_wgs_120_tpt_30_halfLds_half_ip_CI_unitstride_sbrr_R2C_dirReg ; -- Begin function fft_rtc_back_len450_factors_10_5_3_3_wgs_120_tpt_30_halfLds_half_ip_CI_unitstride_sbrr_R2C_dirReg
	.globl	fft_rtc_back_len450_factors_10_5_3_3_wgs_120_tpt_30_halfLds_half_ip_CI_unitstride_sbrr_R2C_dirReg
	.p2align	8
	.type	fft_rtc_back_len450_factors_10_5_3_3_wgs_120_tpt_30_halfLds_half_ip_CI_unitstride_sbrr_R2C_dirReg,@function
fft_rtc_back_len450_factors_10_5_3_3_wgs_120_tpt_30_halfLds_half_ip_CI_unitstride_sbrr_R2C_dirReg: ; @fft_rtc_back_len450_factors_10_5_3_3_wgs_120_tpt_30_halfLds_half_ip_CI_unitstride_sbrr_R2C_dirReg
; %bb.0:
	s_load_dwordx2 s[12:13], s[4:5], 0x50
	s_load_dwordx4 s[8:11], s[4:5], 0x0
	s_load_dwordx2 s[2:3], s[4:5], 0x18
	v_mul_u32_u24_e32 v1, 0x889, v0
	v_lshrrev_b32_e32 v9, 16, v1
	v_mov_b32_e32 v3, 0
	s_waitcnt lgkmcnt(0)
	v_cmp_lt_u64_e64 s[0:1], s[10:11], 2
	v_mov_b32_e32 v1, 0
	v_lshl_add_u32 v5, s6, 2, v9
	v_mov_b32_e32 v6, v3
	s_and_b64 vcc, exec, s[0:1]
	v_mov_b32_e32 v2, 0
	s_cbranch_vccnz .LBB0_8
; %bb.1:
	s_load_dwordx2 s[0:1], s[4:5], 0x10
	s_add_u32 s6, s2, 8
	s_addc_u32 s7, s3, 0
	v_mov_b32_e32 v1, 0
	v_mov_b32_e32 v2, 0
	s_waitcnt lgkmcnt(0)
	s_add_u32 s14, s0, 8
	s_addc_u32 s15, s1, 0
	s_mov_b64 s[16:17], 1
.LBB0_2:                                ; =>This Inner Loop Header: Depth=1
	s_load_dwordx2 s[18:19], s[14:15], 0x0
                                        ; implicit-def: $vgpr7_vgpr8
	s_waitcnt lgkmcnt(0)
	v_or_b32_e32 v4, s19, v6
	v_cmp_ne_u64_e32 vcc, 0, v[3:4]
	s_and_saveexec_b64 s[0:1], vcc
	s_xor_b64 s[20:21], exec, s[0:1]
	s_cbranch_execz .LBB0_4
; %bb.3:                                ;   in Loop: Header=BB0_2 Depth=1
	v_cvt_f32_u32_e32 v4, s18
	v_cvt_f32_u32_e32 v7, s19
	s_sub_u32 s0, 0, s18
	s_subb_u32 s1, 0, s19
	v_mac_f32_e32 v4, 0x4f800000, v7
	v_rcp_f32_e32 v4, v4
	v_mul_f32_e32 v4, 0x5f7ffffc, v4
	v_mul_f32_e32 v7, 0x2f800000, v4
	v_trunc_f32_e32 v7, v7
	v_mac_f32_e32 v4, 0xcf800000, v7
	v_cvt_u32_f32_e32 v7, v7
	v_cvt_u32_f32_e32 v4, v4
	v_mul_lo_u32 v8, s0, v7
	v_mul_hi_u32 v10, s0, v4
	v_mul_lo_u32 v12, s1, v4
	v_mul_lo_u32 v11, s0, v4
	v_add_u32_e32 v8, v10, v8
	v_add_u32_e32 v8, v8, v12
	v_mul_hi_u32 v10, v4, v11
	v_mul_lo_u32 v12, v4, v8
	v_mul_hi_u32 v14, v4, v8
	v_mul_hi_u32 v13, v7, v11
	v_mul_lo_u32 v11, v7, v11
	v_mul_hi_u32 v15, v7, v8
	v_add_co_u32_e32 v10, vcc, v10, v12
	v_addc_co_u32_e32 v12, vcc, 0, v14, vcc
	v_mul_lo_u32 v8, v7, v8
	v_add_co_u32_e32 v10, vcc, v10, v11
	v_addc_co_u32_e32 v10, vcc, v12, v13, vcc
	v_addc_co_u32_e32 v11, vcc, 0, v15, vcc
	v_add_co_u32_e32 v8, vcc, v10, v8
	v_addc_co_u32_e32 v10, vcc, 0, v11, vcc
	v_add_co_u32_e32 v4, vcc, v4, v8
	v_addc_co_u32_e32 v7, vcc, v7, v10, vcc
	v_mul_lo_u32 v8, s0, v7
	v_mul_hi_u32 v10, s0, v4
	v_mul_lo_u32 v11, s1, v4
	v_mul_lo_u32 v12, s0, v4
	v_add_u32_e32 v8, v10, v8
	v_add_u32_e32 v8, v8, v11
	v_mul_lo_u32 v13, v4, v8
	v_mul_hi_u32 v14, v4, v12
	v_mul_hi_u32 v15, v4, v8
	;; [unrolled: 1-line block ×3, first 2 shown]
	v_mul_lo_u32 v12, v7, v12
	v_mul_hi_u32 v10, v7, v8
	v_add_co_u32_e32 v13, vcc, v14, v13
	v_addc_co_u32_e32 v14, vcc, 0, v15, vcc
	v_mul_lo_u32 v8, v7, v8
	v_add_co_u32_e32 v12, vcc, v13, v12
	v_addc_co_u32_e32 v11, vcc, v14, v11, vcc
	v_addc_co_u32_e32 v10, vcc, 0, v10, vcc
	v_add_co_u32_e32 v8, vcc, v11, v8
	v_addc_co_u32_e32 v10, vcc, 0, v10, vcc
	v_add_co_u32_e32 v4, vcc, v4, v8
	v_addc_co_u32_e32 v10, vcc, v7, v10, vcc
	v_mad_u64_u32 v[7:8], s[0:1], v5, v10, 0
	v_mul_hi_u32 v11, v5, v4
	v_add_co_u32_e32 v12, vcc, v11, v7
	v_addc_co_u32_e32 v13, vcc, 0, v8, vcc
	v_mad_u64_u32 v[7:8], s[0:1], v6, v4, 0
	v_mad_u64_u32 v[10:11], s[0:1], v6, v10, 0
	v_add_co_u32_e32 v4, vcc, v12, v7
	v_addc_co_u32_e32 v4, vcc, v13, v8, vcc
	v_addc_co_u32_e32 v7, vcc, 0, v11, vcc
	v_add_co_u32_e32 v4, vcc, v4, v10
	v_addc_co_u32_e32 v10, vcc, 0, v7, vcc
	v_mul_lo_u32 v11, s19, v4
	v_mul_lo_u32 v12, s18, v10
	v_mad_u64_u32 v[7:8], s[0:1], s18, v4, 0
	v_add3_u32 v8, v8, v12, v11
	v_sub_u32_e32 v11, v6, v8
	v_mov_b32_e32 v12, s19
	v_sub_co_u32_e32 v7, vcc, v5, v7
	v_subb_co_u32_e64 v11, s[0:1], v11, v12, vcc
	v_subrev_co_u32_e64 v12, s[0:1], s18, v7
	v_subbrev_co_u32_e64 v11, s[0:1], 0, v11, s[0:1]
	v_cmp_le_u32_e64 s[0:1], s19, v11
	v_cndmask_b32_e64 v13, 0, -1, s[0:1]
	v_cmp_le_u32_e64 s[0:1], s18, v12
	v_cndmask_b32_e64 v12, 0, -1, s[0:1]
	v_cmp_eq_u32_e64 s[0:1], s19, v11
	v_cndmask_b32_e64 v11, v13, v12, s[0:1]
	v_add_co_u32_e64 v12, s[0:1], 2, v4
	v_addc_co_u32_e64 v13, s[0:1], 0, v10, s[0:1]
	v_add_co_u32_e64 v14, s[0:1], 1, v4
	v_addc_co_u32_e64 v15, s[0:1], 0, v10, s[0:1]
	v_subb_co_u32_e32 v8, vcc, v6, v8, vcc
	v_cmp_ne_u32_e64 s[0:1], 0, v11
	v_cmp_le_u32_e32 vcc, s19, v8
	v_cndmask_b32_e64 v11, v15, v13, s[0:1]
	v_cndmask_b32_e64 v13, 0, -1, vcc
	v_cmp_le_u32_e32 vcc, s18, v7
	v_cndmask_b32_e64 v7, 0, -1, vcc
	v_cmp_eq_u32_e32 vcc, s19, v8
	v_cndmask_b32_e32 v7, v13, v7, vcc
	v_cmp_ne_u32_e32 vcc, 0, v7
	v_cndmask_b32_e64 v7, v14, v12, s[0:1]
	v_cndmask_b32_e32 v8, v10, v11, vcc
	v_cndmask_b32_e32 v7, v4, v7, vcc
.LBB0_4:                                ;   in Loop: Header=BB0_2 Depth=1
	s_andn2_saveexec_b64 s[0:1], s[20:21]
	s_cbranch_execz .LBB0_6
; %bb.5:                                ;   in Loop: Header=BB0_2 Depth=1
	v_cvt_f32_u32_e32 v4, s18
	s_sub_i32 s20, 0, s18
	v_rcp_iflag_f32_e32 v4, v4
	v_mul_f32_e32 v4, 0x4f7ffffe, v4
	v_cvt_u32_f32_e32 v4, v4
	v_mul_lo_u32 v7, s20, v4
	v_mul_hi_u32 v7, v4, v7
	v_add_u32_e32 v4, v4, v7
	v_mul_hi_u32 v4, v5, v4
	v_mul_lo_u32 v7, v4, s18
	v_add_u32_e32 v8, 1, v4
	v_sub_u32_e32 v7, v5, v7
	v_subrev_u32_e32 v10, s18, v7
	v_cmp_le_u32_e32 vcc, s18, v7
	v_cndmask_b32_e32 v7, v7, v10, vcc
	v_cndmask_b32_e32 v4, v4, v8, vcc
	v_add_u32_e32 v8, 1, v4
	v_cmp_le_u32_e32 vcc, s18, v7
	v_cndmask_b32_e32 v7, v4, v8, vcc
	v_mov_b32_e32 v8, v3
.LBB0_6:                                ;   in Loop: Header=BB0_2 Depth=1
	s_or_b64 exec, exec, s[0:1]
	v_mul_lo_u32 v4, v8, s18
	v_mul_lo_u32 v12, v7, s19
	v_mad_u64_u32 v[10:11], s[0:1], v7, s18, 0
	s_load_dwordx2 s[0:1], s[6:7], 0x0
	s_add_u32 s16, s16, 1
	v_add3_u32 v4, v11, v12, v4
	v_sub_co_u32_e32 v5, vcc, v5, v10
	v_subb_co_u32_e32 v4, vcc, v6, v4, vcc
	s_waitcnt lgkmcnt(0)
	v_mul_lo_u32 v4, s0, v4
	v_mul_lo_u32 v6, s1, v5
	v_mad_u64_u32 v[1:2], s[0:1], s0, v5, v[1:2]
	s_addc_u32 s17, s17, 0
	s_add_u32 s6, s6, 8
	v_add3_u32 v2, v6, v2, v4
	v_mov_b32_e32 v4, s10
	v_mov_b32_e32 v5, s11
	s_addc_u32 s7, s7, 0
	v_cmp_ge_u64_e32 vcc, s[16:17], v[4:5]
	s_add_u32 s14, s14, 8
	s_addc_u32 s15, s15, 0
	s_cbranch_vccnz .LBB0_9
; %bb.7:                                ;   in Loop: Header=BB0_2 Depth=1
	v_mov_b32_e32 v5, v7
	v_mov_b32_e32 v6, v8
	s_branch .LBB0_2
.LBB0_8:
	v_mov_b32_e32 v8, v6
	v_mov_b32_e32 v7, v5
.LBB0_9:
	s_lshl_b64 s[0:1], s[10:11], 3
	s_add_u32 s0, s2, s0
	s_addc_u32 s1, s3, s1
	s_load_dwordx2 s[2:3], s[0:1], 0x0
	s_load_dwordx2 s[6:7], s[4:5], 0x20
	v_and_b32_e32 v3, 3, v9
	s_waitcnt lgkmcnt(0)
	v_mad_u64_u32 v[1:2], s[0:1], s2, v7, v[1:2]
	s_mov_b32 s0, 0x8888889
	v_mul_lo_u32 v4, s2, v8
	v_mul_lo_u32 v5, s3, v7
	v_mul_hi_u32 v6, v0, s0
	v_cmp_gt_u64_e32 vcc, s[6:7], v[7:8]
	v_cmp_le_u64_e64 s[0:1], s[6:7], v[7:8]
	v_add3_u32 v2, v5, v2, v4
	v_mul_u32_u24_e32 v4, 30, v6
	v_sub_u32_e32 v0, v0, v4
	v_add_u32_e32 v4, 30, v0
	s_and_saveexec_b64 s[2:3], s[0:1]
	s_xor_b64 s[0:1], exec, s[2:3]
; %bb.10:
	v_add_u32_e32 v4, 30, v0
; %bb.11:
	s_or_saveexec_b64 s[2:3], s[0:1]
	v_mul_u32_u24_e32 v5, 0x1c3, v3
	v_lshlrev_b64 v[2:3], 2, v[1:2]
	v_lshlrev_b32_e32 v28, 2, v5
	v_lshlrev_b32_e32 v24, 2, v0
	s_xor_b64 exec, exec, s[2:3]
	s_cbranch_execz .LBB0_13
; %bb.12:
	v_mov_b32_e32 v1, 0
	v_mov_b32_e32 v5, s13
	v_add_co_u32_e64 v7, s[0:1], s12, v2
	v_addc_co_u32_e64 v8, s[0:1], v5, v3, s[0:1]
	v_lshlrev_b64 v[5:6], 2, v[0:1]
	v_add_co_u32_e64 v5, s[0:1], v7, v5
	v_addc_co_u32_e64 v6, s[0:1], v8, v6, s[0:1]
	global_load_dword v1, v[5:6], off
	global_load_dword v7, v[5:6], off offset:120
	global_load_dword v8, v[5:6], off offset:240
	;; [unrolled: 1-line block ×14, first 2 shown]
	v_add3_u32 v5, 0, v28, v24
	v_add_u32_e32 v6, 0x200, v5
	v_add_u32_e32 v21, 0x400, v5
	s_waitcnt vmcnt(13)
	ds_write2_b32 v5, v1, v7 offset1:30
	s_waitcnt vmcnt(11)
	ds_write2_b32 v5, v8, v9 offset0:60 offset1:90
	s_waitcnt vmcnt(9)
	ds_write2_b32 v5, v10, v11 offset0:120 offset1:150
	;; [unrolled: 2-line block ×6, first 2 shown]
	s_waitcnt vmcnt(0)
	ds_write_b32 v5, v20 offset:1680
.LBB0_13:
	s_or_b64 exec, exec, s[2:3]
	v_add_u32_e32 v1, 0, v24
	v_add_u32_e32 v1, v1, v28
	;; [unrolled: 1-line block ×3, first 2 shown]
	s_waitcnt lgkmcnt(0)
	s_barrier
	ds_read2_b32 v[17:18], v1 offset0:75 offset1:90
	ds_read2_b32 v[15:16], v1 offset0:120 offset1:135
	;; [unrolled: 1-line block ×5, first 2 shown]
	v_add_u32_e32 v26, 0x400, v1
	ds_read2_b32 v[9:10], v26 offset0:89 offset1:104
	ds_read2_b32 v[11:12], v26 offset0:44 offset1:59
	;; [unrolled: 1-line block ×3, first 2 shown]
	s_waitcnt lgkmcnt(5)
	v_sub_f16_e32 v22, v18, v20
	s_waitcnt lgkmcnt(4)
	v_sub_f16_sdwa v23, v16, v6 dst_sel:DWORD dst_unused:UNUSED_PAD src0_sel:WORD_1 src1_sel:WORD_1
	s_waitcnt lgkmcnt(2)
	v_sub_f16_e32 v21, v10, v8
	v_add_f16_e32 v30, v22, v21
	v_sub_f16_sdwa v21, v18, v20 dst_sel:DWORD dst_unused:UNUSED_PAD src0_sel:WORD_1 src1_sel:WORD_1
	v_sub_f16_sdwa v22, v10, v8 dst_sel:DWORD dst_unused:UNUSED_PAD src0_sel:WORD_1 src1_sel:WORD_1
	v_add_f16_e32 v31, v21, v22
	s_waitcnt lgkmcnt(0)
	v_sub_f16_e32 v21, v14, v12
	v_sub_f16_e32 v22, v16, v6
	v_add_f16_e32 v32, v22, v21
	ds_read2_b32 v[21:22], v1 offset0:30 offset1:45
	v_sub_f16_sdwa v25, v14, v12 dst_sel:DWORD dst_unused:UNUSED_PAD src0_sel:WORD_1 src1_sel:WORD_1
	v_add_f16_e32 v33, v23, v25
	v_add_f16_e32 v23, v6, v12
	s_mov_b32 s5, 0xbb9c
	s_waitcnt lgkmcnt(0)
	v_fma_f16 v34, v23, -0.5, v22
	v_sub_f16_sdwa v35, v16, v14 dst_sel:DWORD dst_unused:UNUSED_PAD src0_sel:WORD_1 src1_sel:WORD_1
	s_mov_b32 s4, 0xb8b4
	v_fma_f16 v23, v35, s5, v34
	v_sub_f16_sdwa v36, v6, v12 dst_sel:DWORD dst_unused:UNUSED_PAD src0_sel:WORD_1 src1_sel:WORD_1
	s_movk_i32 s6, 0x34f2
	v_fma_f16 v23, v36, s4, v23
	v_fma_f16 v29, v32, s6, v23
	v_add_f16_sdwa v23, v6, v12 dst_sel:DWORD dst_unused:UNUSED_PAD src0_sel:WORD_1 src1_sel:WORD_1
	v_lshrrev_b32_e32 v37, 16, v22
	s_movk_i32 s7, 0x3b9c
	v_fma_f16 v38, v23, -0.5, v37
	v_sub_f16_e32 v39, v16, v14
	s_movk_i32 s10, 0x38b4
	v_fma_f16 v23, v39, s7, v38
	v_sub_f16_e32 v40, v6, v12
	v_fma_f16 v23, v40, s10, v23
	v_fma_f16 v41, v33, s6, v23
	s_movk_i32 s11, 0x3a79
	v_mul_f16_e32 v23, 0xb8b4, v41
	v_add_u32_e32 v25, 0, v28
	v_fma_f16 v42, v29, s11, v23
	v_add_u32_e32 v23, v25, v24
	ds_read_b32 v43, v23
	v_mul_f16_e32 v29, 0x38b4, v29
	v_fma_f16 v41, v41, s11, v29
	ds_read_b32 v29, v1 offset:1740
	v_add_f16_e32 v44, v20, v8
	v_add_f16_sdwa v48, v20, v8 dst_sel:DWORD dst_unused:UNUSED_PAD src0_sel:WORD_1 src1_sel:WORD_1
	s_waitcnt lgkmcnt(1)
	v_lshrrev_b32_e32 v49, 16, v43
	v_fma_f16 v44, v44, -0.5, v43
	v_sub_f16_sdwa v45, v18, v10 dst_sel:DWORD dst_unused:UNUSED_PAD src0_sel:WORD_1 src1_sel:WORD_1
	v_fma_f16 v48, v48, -0.5, v49
	v_sub_f16_e32 v50, v18, v10
	v_fma_f16 v46, v45, s5, v44
	v_sub_f16_sdwa v47, v20, v8 dst_sel:DWORD dst_unused:UNUSED_PAD src0_sel:WORD_1 src1_sel:WORD_1
	v_fma_f16 v51, v50, s7, v48
	v_sub_f16_e32 v52, v20, v8
	v_fma_f16 v46, v47, s4, v46
	v_fma_f16 v51, v52, s10, v51
	v_pk_add_f16 v55, v43, v18
	v_pk_add_f16 v56, v22, v16
	v_fma_f16 v46, v30, s6, v46
	v_fma_f16 v51, v31, s6, v51
	v_pk_add_f16 v55, v55, v20
	v_pk_add_f16 v56, v56, v6
	v_add_f16_e32 v53, v46, v42
	v_add_f16_e32 v54, v51, v41
	v_pk_add_f16 v55, v55, v8
	v_pk_add_f16 v56, v56, v12
	v_pack_b32_f16 v53, v53, v54
	v_mul_u32_u24_e32 v54, 10, v0
	v_pk_add_f16 v55, v55, v10
	v_pk_add_f16 v56, v56, v14
	v_lshl_add_u32 v54, v54, 2, v25
	v_pk_add_f16 v57, v55, v56
	s_waitcnt lgkmcnt(0)
	s_barrier
	ds_write2_b32 v54, v57, v53 offset1:1
	v_add_f16_e32 v53, v18, v10
	v_fma_f16 v43, v53, -0.5, v43
	v_sub_f16_e32 v53, v8, v10
	v_sub_f16_e32 v57, v20, v18
	v_add_f16_e32 v53, v57, v53
	v_fma_f16 v57, v47, s7, v43
	v_fma_f16 v43, v47, s5, v43
	;; [unrolled: 1-line block ×6, first 2 shown]
	v_add_f16_sdwa v53, v18, v10 dst_sel:DWORD dst_unused:UNUSED_PAD src0_sel:WORD_1 src1_sel:WORD_1
	v_fma_f16 v49, v53, -0.5, v49
	v_sub_f16_sdwa v18, v20, v18 dst_sel:DWORD dst_unused:UNUSED_PAD src0_sel:WORD_1 src1_sel:WORD_1
	v_sub_f16_sdwa v8, v8, v10 dst_sel:DWORD dst_unused:UNUSED_PAD src0_sel:WORD_1 src1_sel:WORD_1
	v_add_f16_e32 v8, v18, v8
	v_fma_f16 v10, v52, s5, v49
	v_fma_f16 v18, v52, s7, v49
	v_fma_f16 v10, v50, s10, v10
	v_fma_f16 v18, v50, s4, v18
	v_fma_f16 v10, v8, s6, v10
	v_fma_f16 v8, v8, s6, v18
	v_sub_f16_e32 v18, v12, v14
	v_sub_f16_e32 v20, v6, v16
	v_add_f16_e32 v18, v20, v18
	v_add_f16_e32 v20, v16, v14
	v_fma_f16 v20, v20, -0.5, v22
	v_fma_f16 v22, v36, s7, v20
	v_fma_f16 v20, v36, s5, v20
	;; [unrolled: 1-line block ×6, first 2 shown]
	v_add_f16_sdwa v20, v16, v14 dst_sel:DWORD dst_unused:UNUSED_PAD src0_sel:WORD_1 src1_sel:WORD_1
	v_fma_f16 v20, v20, -0.5, v37
	v_sub_f16_sdwa v6, v6, v16 dst_sel:DWORD dst_unused:UNUSED_PAD src0_sel:WORD_1 src1_sel:WORD_1
	v_sub_f16_sdwa v12, v12, v14 dst_sel:DWORD dst_unused:UNUSED_PAD src0_sel:WORD_1 src1_sel:WORD_1
	v_add_f16_e32 v6, v6, v12
	v_fma_f16 v12, v40, s5, v20
	v_fma_f16 v14, v40, s7, v20
	;; [unrolled: 1-line block ×6, first 2 shown]
	s_mov_b32 s14, 0xb4f2
	v_mul_f16_e32 v16, 0xbb9c, v6
	v_mul_f16_e32 v6, 0xb4f2, v6
	;; [unrolled: 1-line block ×4, first 2 shown]
	v_fma_f16 v16, v18, s14, v16
	v_fma_f16 v6, v18, s7, v6
	;; [unrolled: 1-line block ×4, first 2 shown]
	v_add_f16_e32 v18, v43, v16
	v_add_f16_e32 v20, v8, v6
	v_pack_b32_f16 v18, v18, v20
	v_add_f16_e32 v20, v57, v14
	v_add_f16_e32 v22, v10, v12
	v_pack_b32_f16 v20, v20, v22
	ds_write2_b32 v54, v20, v18 offset0:2 offset1:3
	v_fma_f16 v18, v45, s7, v44
	v_fma_f16 v18, v47, s10, v18
	;; [unrolled: 1-line block ×12, first 2 shown]
	s_mov_b32 s15, 0xba79
	v_mul_f16_e32 v31, 0xb8b4, v30
	v_mul_f16_e32 v30, 0xba79, v30
	v_fma_f16 v31, v22, s15, v31
	v_fma_f16 v22, v22, s10, v30
	v_add_f16_e32 v32, v18, v31
	v_add_f16_e32 v33, v20, v22
	v_pk_add_f16 v30, v55, v56 neg_lo:[0,1] neg_hi:[0,1]
	v_pack_b32_f16 v32, v32, v33
	ds_write2_b32 v54, v32, v30 offset0:4 offset1:5
	v_sub_f16_e32 v30, v46, v42
	v_sub_f16_e32 v14, v57, v14
	;; [unrolled: 1-line block ×4, first 2 shown]
	v_pack_b32_f16 v10, v14, v10
	v_pack_b32_f16 v12, v30, v32
	ds_write2_b32 v54, v12, v10 offset0:6 offset1:7
	v_sub_f16_e32 v10, v43, v16
	v_sub_f16_e32 v12, v18, v31
	;; [unrolled: 1-line block ×4, first 2 shown]
	v_pack_b32_f16 v8, v12, v8
	v_pack_b32_f16 v6, v10, v6
	v_cmp_gt_u32_e64 s[0:1], 15, v0
	ds_write2_b32 v54, v6, v8 offset0:8 offset1:9
	s_and_saveexec_b64 s[2:3], s[0:1]
	s_cbranch_execz .LBB0_15
; %bb.14:
	v_sub_f16_sdwa v6, v15, v5 dst_sel:DWORD dst_unused:UNUSED_PAD src0_sel:WORD_1 src1_sel:WORD_1
	v_sub_f16_sdwa v8, v13, v11 dst_sel:DWORD dst_unused:UNUSED_PAD src0_sel:WORD_1 src1_sel:WORD_1
	;; [unrolled: 1-line block ×4, first 2 shown]
	v_add_f16_e32 v6, v6, v8
	v_add_f16_sdwa v8, v5, v11 dst_sel:DWORD dst_unused:UNUSED_PAD src0_sel:WORD_1 src1_sel:WORD_1
	v_lshrrev_b32_e32 v10, 16, v21
	v_add_f16_e32 v40, v40, v41
	v_add_f16_sdwa v41, v15, v13 dst_sel:DWORD dst_unused:UNUSED_PAD src0_sel:WORD_1 src1_sel:WORD_1
	v_fma_f16 v8, v8, -0.5, v10
	v_sub_f16_e32 v16, v5, v11
	v_fma_f16 v10, v41, -0.5, v10
	v_sub_f16_e32 v42, v9, v29
	v_sub_f16_e32 v43, v7, v19
	;; [unrolled: 1-line block ×5, first 2 shown]
	v_fma_f16 v41, v16, s7, v10
	v_add_f16_e32 v42, v43, v42
	v_add_f16_e32 v43, v19, v29
	v_fma_f16 v10, v16, s5, v10
	v_fma_f16 v14, v12, s5, v8
	v_add_f16_e32 v18, v20, v18
	v_add_f16_e32 v20, v7, v9
	v_sub_f16_sdwa v31, v7, v9 dst_sel:DWORD dst_unused:UNUSED_PAD src0_sel:WORD_1 src1_sel:WORD_1
	v_sub_f16_sdwa v32, v19, v7 dst_sel:DWORD dst_unused:UNUSED_PAD src0_sel:WORD_1 src1_sel:WORD_1
	;; [unrolled: 1-line block ×3, first 2 shown]
	v_fma_f16 v41, v12, s4, v41
	v_fma_f16 v43, v43, -0.5, v17
	v_fma_f16 v10, v12, s10, v10
	v_fma_f16 v8, v12, s7, v8
	;; [unrolled: 1-line block ×3, first 2 shown]
	v_fma_f16 v20, v20, -0.5, v17
	v_sub_f16_sdwa v22, v19, v29 dst_sel:DWORD dst_unused:UNUSED_PAD src0_sel:WORD_1 src1_sel:WORD_1
	v_add_f16_e32 v32, v32, v33
	v_add_f16_sdwa v33, v7, v9 dst_sel:DWORD dst_unused:UNUSED_PAD src0_sel:WORD_1 src1_sel:WORD_1
	v_lshrrev_b32_e32 v34, 16, v17
	v_fma_f16 v41, v40, s6, v41
	v_fma_f16 v44, v31, s5, v43
	v_sub_f16_sdwa v45, v7, v19 dst_sel:DWORD dst_unused:UNUSED_PAD src0_sel:WORD_1 src1_sel:WORD_1
	v_sub_f16_sdwa v46, v9, v29 dst_sel:DWORD dst_unused:UNUSED_PAD src0_sel:WORD_1 src1_sel:WORD_1
	v_fma_f16 v10, v40, s6, v10
	v_fma_f16 v40, v31, s7, v43
	;; [unrolled: 1-line block ×5, first 2 shown]
	v_fma_f16 v33, v33, -0.5, v34
	v_sub_f16_e32 v35, v19, v29
	v_fma_f16 v44, v22, s10, v44
	v_add_f16_e32 v45, v45, v46
	v_add_f16_sdwa v46, v19, v29 dst_sel:DWORD dst_unused:UNUSED_PAD src0_sel:WORD_1 src1_sel:WORD_1
	v_fma_f16 v40, v22, s4, v40
	v_fma_f16 v6, v6, s6, v8
	;; [unrolled: 1-line block ×3, first 2 shown]
	v_pk_add_f16 v17, v17, v19
	v_sub_f16_e32 v19, v13, v11
	v_sub_f16_e32 v22, v15, v5
	v_fma_f16 v36, v35, s5, v33
	v_sub_f16_e32 v37, v7, v9
	v_fma_f16 v8, v31, s4, v8
	v_fma_f16 v16, v35, s7, v33
	v_add_f16_e32 v19, v22, v19
	v_add_f16_e32 v22, v5, v11
	v_fma_f16 v30, v31, s10, v30
	v_fma_f16 v36, v37, s4, v36
	v_fma_f16 v34, v46, -0.5, v34
	v_fma_f16 v8, v18, s6, v8
	v_fma_f16 v16, v37, s10, v16
	v_fma_f16 v22, v22, -0.5, v21
	v_sub_f16_sdwa v31, v15, v13 dst_sel:DWORD dst_unused:UNUSED_PAD src0_sel:WORD_1 src1_sel:WORD_1
	v_fma_f16 v36, v32, s6, v36
	v_fma_f16 v46, v37, s7, v34
	;; [unrolled: 1-line block ×3, first 2 shown]
	v_mul_f16_e32 v12, 0x38b4, v8
	v_fma_f16 v16, v32, s6, v16
	v_pk_add_f16 v20, v21, v15
	v_fma_f16 v32, v31, s7, v22
	v_sub_f16_sdwa v33, v5, v11 dst_sel:DWORD dst_unused:UNUSED_PAD src0_sel:WORD_1 src1_sel:WORD_1
	v_sub_f16_e32 v37, v5, v15
	v_add_f16_e32 v15, v15, v13
	v_fma_f16 v22, v31, s5, v22
	v_fma_f16 v46, v35, s4, v46
	;; [unrolled: 1-line block ×5, first 2 shown]
	v_fma_f16 v15, v15, -0.5, v21
	v_fma_f16 v22, v33, s4, v22
	v_mul_f16_e32 v16, 0xb8b4, v16
	v_mul_f16_e32 v38, 0xba79, v36
	v_fma_f16 v46, v45, s6, v46
	v_fma_f16 v34, v45, s6, v34
	;; [unrolled: 1-line block ×3, first 2 shown]
	v_mul_f16_e32 v35, 0xb8b4, v36
	v_sub_f16_e32 v36, v11, v13
	v_fma_f16 v21, v33, s5, v15
	v_fma_f16 v15, v33, s7, v15
	;; [unrolled: 1-line block ×4, first 2 shown]
	v_pk_add_f16 v5, v20, v5
	v_pk_add_f16 v7, v17, v7
	v_fma_f16 v44, v42, s6, v44
	v_mul_f16_e32 v47, 0xb4f2, v46
	v_fma_f16 v40, v42, s6, v40
	v_mul_f16_e32 v42, 0x34f2, v34
	v_add_f16_e32 v36, v37, v36
	v_fma_f16 v21, v31, s10, v21
	v_mul_f16_e32 v37, 0xbb9c, v46
	v_fma_f16 v15, v31, s4, v15
	v_mul_f16_e32 v34, 0xbb9c, v34
	v_sub_f16_e32 v16, v19, v8
	v_add_f16_e32 v8, v19, v8
	v_mul_i32_i24_e32 v19, 10, v4
	v_pk_add_f16 v5, v5, v11
	v_pk_add_f16 v7, v7, v9
	v_fma_f16 v30, v18, s6, v30
	v_fma_f16 v47, v44, s7, v47
	;; [unrolled: 1-line block ×3, first 2 shown]
	v_sub_f16_e32 v18, v6, v12
	v_fma_f16 v21, v36, s6, v21
	v_fma_f16 v37, v44, s14, v37
	;; [unrolled: 1-line block ×4, first 2 shown]
	v_add_f16_e32 v6, v6, v12
	v_lshlrev_b32_e32 v19, 2, v19
	v_pk_add_f16 v5, v5, v13
	v_pk_add_f16 v7, v7, v29
	v_fma_f16 v38, v30, s10, v38
	v_sub_f16_e32 v43, v10, v42
	v_fma_f16 v30, v30, s15, v35
	v_sub_f16_e32 v44, v21, v37
	v_sub_f16_e32 v36, v15, v34
	v_add_f16_e32 v22, v41, v47
	v_add_f16_e32 v10, v10, v42
	;; [unrolled: 1-line block ×4, first 2 shown]
	v_add3_u32 v19, 0, v19, v28
	v_pk_add_f16 v9, v5, v7
	v_pack_b32_f16 v6, v8, v6
	v_sub_f16_e32 v39, v14, v38
	v_add_f16_e32 v14, v14, v38
	v_add_f16_e32 v12, v32, v30
	ds_write2_b32 v19, v9, v6 offset1:1
	v_pack_b32_f16 v6, v21, v22
	v_pack_b32_f16 v8, v15, v10
	ds_write2_b32 v19, v8, v6 offset0:2 offset1:3
	v_pk_add_f16 v5, v5, v7 neg_lo:[0,1] neg_hi:[0,1]
	v_pack_b32_f16 v6, v12, v14
	v_sub_f16_e32 v48, v41, v47
	v_sub_f16_e32 v35, v32, v30
	ds_write2_b32 v19, v6, v5 offset0:4 offset1:5
	v_pack_b32_f16 v5, v36, v43
	v_pack_b32_f16 v6, v16, v18
	ds_write2_b32 v19, v6, v5 offset0:6 offset1:7
	v_pack_b32_f16 v5, v35, v39
	v_pack_b32_f16 v6, v44, v48
	ds_write2_b32 v19, v6, v5 offset0:8 offset1:9
.LBB0_15:
	s_or_b64 exec, exec, s[2:3]
	s_movk_i32 s2, 0xcd
	v_mul_lo_u16_sdwa v5, v0, s2 dst_sel:DWORD dst_unused:UNUSED_PAD src0_sel:BYTE_0 src1_sel:DWORD
	v_lshrrev_b16_e32 v22, 11, v5
	v_mul_lo_u16_e32 v5, 10, v22
	v_sub_u16_e32 v39, v0, v5
	v_mov_b32_e32 v5, 4
	v_lshlrev_b32_sdwa v6, v5, v39 dst_sel:DWORD dst_unused:UNUSED_PAD src0_sel:DWORD src1_sel:BYTE_0
	s_waitcnt lgkmcnt(0)
	s_barrier
	global_load_dwordx4 v[10:13], v6, s[8:9]
	v_mul_lo_u16_sdwa v6, v4, s2 dst_sel:DWORD dst_unused:UNUSED_PAD src0_sel:BYTE_0 src1_sel:DWORD
	v_lshrrev_b16_e32 v40, 11, v6
	v_mul_lo_u16_e32 v6, 10, v40
	v_sub_u16_e32 v41, v4, v6
	v_lshlrev_b32_sdwa v6, v5, v41 dst_sel:DWORD dst_unused:UNUSED_PAD src0_sel:DWORD src1_sel:BYTE_0
	v_add_u32_e32 v8, 60, v0
	global_load_dwordx4 v[14:17], v6, s[8:9]
	v_mul_lo_u16_sdwa v6, v8, s2 dst_sel:DWORD dst_unused:UNUSED_PAD src0_sel:BYTE_0 src1_sel:DWORD
	v_lshrrev_b16_e32 v42, 11, v6
	v_mul_lo_u16_e32 v6, 10, v42
	v_sub_u16_e32 v43, v8, v6
	v_lshlrev_b32_sdwa v5, v5, v43 dst_sel:DWORD dst_unused:UNUSED_PAD src0_sel:DWORD src1_sel:BYTE_0
	global_load_dwordx4 v[18:21], v5, s[8:9]
	ds_read_b32 v44, v23
	ds_read2_b32 v[5:6], v1 offset0:60 offset1:90
	ds_read2_b32 v[29:30], v1 offset0:180 offset1:210
	;; [unrolled: 1-line block ×6, first 2 shown]
	s_waitcnt lgkmcnt(5)
	v_lshrrev_b32_e32 v53, 16, v6
	s_waitcnt lgkmcnt(4)
	v_lshrrev_b32_e32 v54, 16, v29
	;; [unrolled: 2-line block ×4, first 2 shown]
	v_lshrrev_b32_e32 v50, 16, v30
	v_lshlrev_b32_e32 v7, 2, v4
	v_add3_u32 v7, 0, v7, v28
	s_waitcnt lgkmcnt(1)
	v_lshrrev_b32_e32 v49, 16, v35
	ds_read_b32 v45, v7
	ds_read_b32 v46, v1 offset:1680
	v_lshrrev_b32_e32 v52, 16, v34
	s_waitcnt lgkmcnt(2)
	v_lshrrev_b32_e32 v51, 16, v37
	v_lshrrev_b32_e32 v47, 16, v44
	v_mov_b32_e32 v9, 2
	s_movk_i32 s2, 0xc8
	v_lshlrev_b32_sdwa v39, v9, v39 dst_sel:DWORD dst_unused:UNUSED_PAD src0_sel:DWORD src1_sel:BYTE_0
	s_waitcnt vmcnt(0) lgkmcnt(0)
	s_barrier
	v_lshlrev_b32_sdwa v41, v9, v41 dst_sel:DWORD dst_unused:UNUSED_PAD src0_sel:DWORD src1_sel:BYTE_0
	v_lshlrev_b32_sdwa v43, v9, v43 dst_sel:DWORD dst_unused:UNUSED_PAD src0_sel:DWORD src1_sel:BYTE_0
	v_mul_f16_sdwa v59, v11, v29 dst_sel:DWORD dst_unused:UNUSED_PAD src0_sel:WORD_1 src1_sel:DWORD
	v_mul_f16_sdwa v57, v10, v6 dst_sel:DWORD dst_unused:UNUSED_PAD src0_sel:WORD_1 src1_sel:DWORD
	;; [unrolled: 1-line block ×3, first 2 shown]
	v_fma_f16 v54, v11, v54, -v59
	v_mul_f16_sdwa v59, v12, v32 dst_sel:DWORD dst_unused:UNUSED_PAD src0_sel:WORD_1 src1_sel:DWORD
	v_mul_f16_sdwa v56, v10, v53 dst_sel:DWORD dst_unused:UNUSED_PAD src0_sel:WORD_1 src1_sel:DWORD
	v_fma_f16 v53, v10, v53, -v57
	v_mul_f16_sdwa v57, v12, v55 dst_sel:DWORD dst_unused:UNUSED_PAD src0_sel:WORD_1 src1_sel:DWORD
	v_fma_f16 v55, v12, v55, -v59
	v_mul_f16_sdwa v59, v33, v13 dst_sel:DWORD dst_unused:UNUSED_PAD src0_sel:DWORD src1_sel:WORD_1
	v_fma_f16 v59, v48, v13, -v59
	v_mul_f16_sdwa v48, v48, v13 dst_sel:DWORD dst_unused:UNUSED_PAD src0_sel:DWORD src1_sel:WORD_1
	v_fma_f16 v6, v10, v6, v56
	v_fma_f16 v10, v11, v29, v58
	v_fma_f16 v11, v12, v32, v57
	v_fma_f16 v12, v33, v13, v48
	v_mul_f16_sdwa v33, v50, v15 dst_sel:DWORD dst_unused:UNUSED_PAD src0_sel:DWORD src1_sel:WORD_1
	v_fma_f16 v33, v30, v15, v33
	v_mul_f16_sdwa v30, v30, v15 dst_sel:DWORD dst_unused:UNUSED_PAD src0_sel:DWORD src1_sel:WORD_1
	v_fma_f16 v15, v50, v15, -v30
	v_mul_f16_sdwa v30, v35, v14 dst_sel:DWORD dst_unused:UNUSED_PAD src0_sel:DWORD src1_sel:WORD_1
	v_lshrrev_b32_e32 v29, 16, v36
	v_fma_f16 v30, v49, v14, -v30
	v_mul_f16_sdwa v49, v49, v14 dst_sel:DWORD dst_unused:UNUSED_PAD src0_sel:DWORD src1_sel:WORD_1
	v_fma_f16 v14, v35, v14, v49
	v_mul_f16_sdwa v49, v29, v18 dst_sel:DWORD dst_unused:UNUSED_PAD src0_sel:DWORD src1_sel:WORD_1
	v_lshrrev_b32_e32 v32, 16, v31
	v_mul_f16_sdwa v48, v52, v17 dst_sel:DWORD dst_unused:UNUSED_PAD src0_sel:DWORD src1_sel:WORD_1
	v_fma_f16 v49, v36, v18, v49
	v_mul_f16_sdwa v36, v36, v18 dst_sel:DWORD dst_unused:UNUSED_PAD src0_sel:DWORD src1_sel:WORD_1
	v_fma_f16 v48, v34, v17, v48
	v_mul_f16_sdwa v34, v34, v17 dst_sel:DWORD dst_unused:UNUSED_PAD src0_sel:DWORD src1_sel:WORD_1
	v_fma_f16 v18, v29, v18, -v36
	v_mul_f16_sdwa v29, v32, v19 dst_sel:DWORD dst_unused:UNUSED_PAD src0_sel:DWORD src1_sel:WORD_1
	v_lshrrev_b32_e32 v56, 16, v38
	v_fma_f16 v17, v52, v17, -v34
	v_mul_f16_sdwa v34, v37, v16 dst_sel:DWORD dst_unused:UNUSED_PAD src0_sel:DWORD src1_sel:WORD_1
	v_mul_f16_sdwa v50, v51, v16 dst_sel:DWORD dst_unused:UNUSED_PAD src0_sel:DWORD src1_sel:WORD_1
	v_fma_f16 v29, v31, v19, v29
	v_mul_f16_sdwa v31, v31, v19 dst_sel:DWORD dst_unused:UNUSED_PAD src0_sel:DWORD src1_sel:WORD_1
	v_fma_f16 v34, v51, v16, -v34
	v_fma_f16 v16, v37, v16, v50
	v_lshrrev_b32_e32 v37, 16, v46
	v_fma_f16 v19, v32, v19, -v31
	v_mul_f16_sdwa v31, v56, v20 dst_sel:DWORD dst_unused:UNUSED_PAD src0_sel:DWORD src1_sel:WORD_1
	v_mul_f16_sdwa v32, v38, v20 dst_sel:DWORD dst_unused:UNUSED_PAD src0_sel:DWORD src1_sel:WORD_1
	v_fma_f16 v31, v38, v20, v31
	v_fma_f16 v20, v56, v20, -v32
	v_mul_f16_sdwa v32, v37, v21 dst_sel:DWORD dst_unused:UNUSED_PAD src0_sel:DWORD src1_sel:WORD_1
	v_mul_f16_sdwa v36, v46, v21 dst_sel:DWORD dst_unused:UNUSED_PAD src0_sel:DWORD src1_sel:WORD_1
	v_fma_f16 v32, v46, v21, v32
	v_fma_f16 v21, v37, v21, -v36
	v_add_f16_e32 v37, v10, v11
	v_fma_f16 v37, v37, -0.5, v44
	v_sub_f16_e32 v38, v53, v59
	v_fma_f16 v46, v38, s5, v37
	v_sub_f16_e32 v50, v54, v55
	v_sub_f16_e32 v51, v6, v10
	;; [unrolled: 1-line block ×3, first 2 shown]
	v_fma_f16 v37, v38, s7, v37
	v_fma_f16 v46, v50, s4, v46
	v_add_f16_e32 v51, v51, v52
	v_fma_f16 v37, v50, s10, v37
	v_fma_f16 v46, v51, s6, v46
	;; [unrolled: 1-line block ×3, first 2 shown]
	v_add_f16_e32 v51, v6, v12
	v_add_f16_e32 v36, v44, v6
	v_fma_f16 v44, v51, -0.5, v44
	v_add_f16_e32 v36, v36, v10
	v_fma_f16 v51, v50, s7, v44
	v_fma_f16 v44, v50, s5, v44
	v_add_f16_e32 v50, v54, v55
	v_add_f16_e32 v36, v36, v11
	v_sub_f16_e32 v52, v10, v6
	v_sub_f16_e32 v56, v11, v12
	v_fma_f16 v50, v50, -0.5, v47
	v_sub_f16_e32 v6, v6, v12
	v_add_f16_e32 v36, v36, v12
	v_fma_f16 v51, v38, s4, v51
	v_add_f16_e32 v52, v52, v56
	v_fma_f16 v38, v38, s10, v44
	v_fma_f16 v12, v6, s7, v50
	v_sub_f16_e32 v10, v10, v11
	v_fma_f16 v51, v52, s6, v51
	v_fma_f16 v38, v52, s6, v38
	;; [unrolled: 1-line block ×3, first 2 shown]
	v_sub_f16_e32 v12, v53, v54
	v_sub_f16_e32 v52, v59, v55
	v_fma_f16 v50, v6, s5, v50
	v_add_f16_e32 v12, v12, v52
	v_fma_f16 v50, v10, s4, v50
	v_fma_f16 v11, v12, s6, v11
	;; [unrolled: 1-line block ×3, first 2 shown]
	v_add_f16_e32 v50, v53, v59
	v_add_f16_e32 v44, v47, v53
	v_fma_f16 v47, v50, -0.5, v47
	v_fma_f16 v50, v10, s5, v47
	v_sub_f16_e32 v52, v54, v53
	v_sub_f16_e32 v53, v55, v59
	v_fma_f16 v10, v10, s7, v47
	v_fma_f16 v50, v6, s10, v50
	v_add_f16_e32 v52, v52, v53
	v_fma_f16 v6, v6, s4, v10
	v_add_f16_e32 v47, v33, v16
	v_add_f16_e32 v44, v44, v54
	v_fma_f16 v50, v52, s6, v50
	v_fma_f16 v6, v52, s6, v6
	v_fma_f16 v47, v47, -0.5, v45
	v_sub_f16_e32 v52, v30, v17
	v_add_f16_e32 v44, v44, v55
	v_fma_f16 v53, v52, s5, v47
	v_sub_f16_e32 v54, v15, v34
	v_sub_f16_e32 v55, v14, v33
	;; [unrolled: 1-line block ×3, first 2 shown]
	v_fma_f16 v47, v52, s7, v47
	v_fma_f16 v53, v54, s4, v53
	v_add_f16_e32 v55, v55, v56
	v_fma_f16 v47, v54, s10, v47
	v_fma_f16 v53, v55, s6, v53
	;; [unrolled: 1-line block ×3, first 2 shown]
	v_add_f16_e32 v55, v14, v48
	v_lshrrev_b32_e32 v35, 16, v45
	v_add_f16_e32 v10, v45, v14
	v_fma_f16 v45, v55, -0.5, v45
	v_add_f16_e32 v10, v10, v33
	v_fma_f16 v55, v54, s7, v45
	v_fma_f16 v45, v54, s5, v45
	v_add_f16_e32 v54, v15, v34
	v_add_f16_e32 v10, v10, v16
	v_sub_f16_e32 v56, v33, v14
	v_sub_f16_e32 v57, v16, v48
	v_fma_f16 v54, v54, -0.5, v35
	v_sub_f16_e32 v14, v14, v48
	v_add_f16_e32 v10, v10, v48
	v_fma_f16 v55, v52, s4, v55
	v_add_f16_e32 v56, v56, v57
	v_fma_f16 v45, v52, s10, v45
	v_fma_f16 v48, v14, s7, v54
	v_sub_f16_e32 v16, v33, v16
	v_fma_f16 v55, v56, s6, v55
	v_fma_f16 v45, v56, s6, v45
	;; [unrolled: 1-line block ×3, first 2 shown]
	v_sub_f16_e32 v48, v30, v15
	v_sub_f16_e32 v56, v17, v34
	v_fma_f16 v54, v14, s5, v54
	v_add_f16_e32 v48, v48, v56
	v_fma_f16 v54, v16, s4, v54
	v_add_f16_e32 v52, v35, v30
	v_fma_f16 v33, v48, s6, v33
	v_fma_f16 v48, v48, s6, v54
	v_add_f16_e32 v54, v30, v17
	v_add_f16_e32 v52, v52, v15
	v_fma_f16 v35, v54, -0.5, v35
	v_add_f16_e32 v52, v52, v34
	v_fma_f16 v54, v16, s5, v35
	v_fma_f16 v16, v16, s7, v35
	v_add_f16_e32 v52, v52, v17
	v_fma_f16 v54, v14, s10, v54
	v_sub_f16_e32 v15, v15, v30
	v_sub_f16_e32 v17, v34, v17
	v_fma_f16 v14, v14, s4, v16
	v_add_f16_e32 v16, v29, v31
	v_add_f16_e32 v15, v15, v17
	v_fma_f16 v16, v16, -0.5, v5
	v_sub_f16_e32 v30, v18, v21
	v_fma_f16 v17, v15, s6, v54
	v_fma_f16 v34, v30, s5, v16
	v_sub_f16_e32 v35, v19, v20
	v_sub_f16_e32 v54, v49, v29
	;; [unrolled: 1-line block ×3, first 2 shown]
	v_fma_f16 v16, v30, s7, v16
	v_fma_f16 v34, v35, s4, v34
	v_add_f16_e32 v54, v54, v56
	v_fma_f16 v16, v35, s10, v16
	v_fma_f16 v14, v15, s6, v14
	v_add_f16_e32 v15, v5, v49
	;; [unrolled: 3-line block ×3, first 2 shown]
	v_lshrrev_b32_e32 v13, 16, v5
	v_add_f16_e32 v15, v15, v29
	v_fma_f16 v5, v54, -0.5, v5
	v_add_f16_e32 v15, v15, v31
	v_fma_f16 v54, v35, s7, v5
	v_fma_f16 v5, v35, s5, v5
	v_add_f16_e32 v35, v19, v20
	v_add_f16_e32 v15, v15, v32
	v_sub_f16_e32 v56, v29, v49
	v_sub_f16_e32 v57, v31, v32
	v_fma_f16 v35, v35, -0.5, v13
	v_sub_f16_e32 v32, v49, v32
	v_fma_f16 v54, v30, s4, v54
	v_add_f16_e32 v56, v56, v57
	v_fma_f16 v5, v30, s10, v5
	v_fma_f16 v49, v32, s7, v35
	v_sub_f16_e32 v29, v29, v31
	v_fma_f16 v54, v56, s6, v54
	v_fma_f16 v5, v56, s6, v5
	;; [unrolled: 1-line block ×3, first 2 shown]
	v_sub_f16_e32 v49, v18, v19
	v_sub_f16_e32 v56, v21, v20
	v_fma_f16 v35, v32, s5, v35
	v_add_f16_e32 v49, v49, v56
	v_fma_f16 v35, v29, s4, v35
	v_fma_f16 v31, v49, s6, v31
	;; [unrolled: 1-line block ×3, first 2 shown]
	v_add_f16_e32 v49, v18, v21
	v_add_f16_e32 v30, v13, v18
	v_fma_f16 v13, v49, -0.5, v13
	v_add_f16_e32 v30, v30, v19
	v_fma_f16 v49, v29, s5, v13
	v_sub_f16_e32 v18, v19, v18
	v_sub_f16_e32 v19, v20, v21
	v_fma_f16 v13, v29, s7, v13
	v_fma_f16 v49, v32, s10, v49
	v_add_f16_e32 v18, v18, v19
	v_fma_f16 v13, v32, s4, v13
	v_add_f16_e32 v44, v44, v59
	v_fma_f16 v19, v18, s6, v49
	v_fma_f16 v13, v18, s6, v13
	v_mad_u32_u24 v18, v22, s2, 0
	v_add_f16_e32 v30, v30, v20
	v_add3_u32 v18, v18, v39, v28
	v_pack_b32_f16 v20, v36, v44
	v_pack_b32_f16 v11, v46, v11
	ds_write2_b32 v18, v20, v11 offset1:10
	v_pack_b32_f16 v11, v51, v50
	v_pack_b32_f16 v6, v38, v6
	ds_write2_b32 v18, v11, v6 offset0:20 offset1:30
	v_pack_b32_f16 v6, v37, v12
	ds_write_b32 v18, v6 offset:160
	v_mad_u32_u24 v6, v40, s2, 0
	v_add3_u32 v6, v6, v41, v28
	v_pack_b32_f16 v10, v10, v52
	v_pack_b32_f16 v11, v53, v33
	ds_write2_b32 v6, v10, v11 offset1:10
	v_pack_b32_f16 v10, v55, v17
	v_pack_b32_f16 v11, v45, v14
	ds_write2_b32 v6, v10, v11 offset0:20 offset1:30
	v_pack_b32_f16 v10, v47, v48
	v_add_f16_e32 v30, v30, v21
	ds_write_b32 v6, v10 offset:160
	v_mad_u32_u24 v6, v42, s2, 0
	v_add3_u32 v6, v6, v43, v28
	v_pack_b32_f16 v10, v15, v30
	v_pack_b32_f16 v11, v34, v31
	ds_write2_b32 v6, v10, v11 offset1:10
	v_pack_b32_f16 v10, v54, v19
	v_pack_b32_f16 v5, v5, v13
	ds_write2_b32 v6, v10, v5 offset0:20 offset1:30
	v_pack_b32_f16 v5, v16, v35
	ds_write_b32 v6, v5 offset:160
	v_lshlrev_b32_e32 v5, 1, v0
	v_mov_b32_e32 v6, 0
	v_lshlrev_b64 v[10:11], 2, v[5:6]
	v_mov_b32_e32 v22, s9
	v_add_co_u32_e64 v10, s[2:3], s8, v10
	v_addc_co_u32_e64 v11, s[2:3], v22, v11, s[2:3]
	v_subrev_u32_e32 v14, 20, v0
	v_cmp_gt_u32_e64 s[2:3], 20, v0
	v_cndmask_b32_e64 v41, v14, v4, s[2:3]
	s_waitcnt lgkmcnt(0)
	s_barrier
	global_load_dwordx2 v[12:13], v[10:11], off offset:160
	v_lshlrev_b32_e32 v14, 1, v41
	v_mov_b32_e32 v15, v6
	v_lshlrev_b64 v[14:15], 2, v[14:15]
	v_add_u32_e32 v5, 20, v5
	v_add_co_u32_e64 v14, s[2:3], s8, v14
	v_addc_co_u32_e64 v15, s[2:3], v22, v15, s[2:3]
	global_load_dwordx2 v[14:15], v[14:15], off offset:160
	v_lshlrev_b64 v[16:17], 2, v[5:6]
	v_add_u32_e32 v42, 0x5a, v0
	v_mov_b32_e32 v5, 41
	v_add_co_u32_e64 v16, s[2:3], s8, v16
	v_mul_lo_u16_sdwa v18, v42, v5 dst_sel:DWORD dst_unused:UNUSED_PAD src0_sel:BYTE_0 src1_sel:DWORD
	v_addc_co_u32_e64 v17, s[2:3], v22, v17, s[2:3]
	v_lshrrev_b16_e32 v43, 11, v18
	global_load_dwordx2 v[16:17], v[16:17], off offset:160
	v_mul_lo_u16_e32 v18, 50, v43
	v_sub_u16_e32 v44, v42, v18
	v_mov_b32_e32 v20, 3
	v_add_u32_e32 v45, 0x78, v0
	v_lshlrev_b32_sdwa v18, v20, v44 dst_sel:DWORD dst_unused:UNUSED_PAD src0_sel:DWORD src1_sel:BYTE_0
	v_mul_lo_u16_sdwa v5, v45, v5 dst_sel:DWORD dst_unused:UNUSED_PAD src0_sel:BYTE_0 src1_sel:DWORD
	global_load_dwordx2 v[18:19], v18, s[8:9] offset:160
	v_lshrrev_b16_e32 v5, 11, v5
	v_mul_lo_u16_e32 v5, 50, v5
	v_sub_u16_e32 v5, v45, v5
	v_lshlrev_b32_sdwa v20, v20, v5 dst_sel:DWORD dst_unused:UNUSED_PAD src0_sel:DWORD src1_sel:BYTE_0
	global_load_dwordx2 v[20:21], v20, s[8:9] offset:160
	ds_read_b32 v46, v23
	ds_read_u16 v47, v1 offset:842
	ds_read_b32 v48, v7
	ds_read_b32 v49, v1 offset:1680
	ds_read2_b32 v[29:30], v1 offset0:120 offset1:150
	ds_read2_b32 v[31:32], v1 offset0:60 offset1:90
	ds_read2_b32 v[33:34], v26 offset0:104 offset1:134
	ds_read2_b32 v[35:36], v26 offset0:44 offset1:74
	ds_read2_b32 v[37:38], v1 offset0:180 offset1:210
	s_waitcnt lgkmcnt(4)
	v_lshrrev_b32_e32 v55, 16, v30
	ds_read2_b32 v[39:40], v27 offset0:112 offset1:142
	s_waitcnt lgkmcnt(3)
	v_lshrrev_b32_e32 v53, 16, v33
	v_lshrrev_b32_e32 v50, 16, v46
	s_waitcnt lgkmcnt(1)
	v_lshrrev_b32_e32 v57, 16, v37
	s_mov_b32 s4, 0xbaee
	s_movk_i32 s5, 0x3aee
	v_lshrrev_b32_e32 v51, 16, v48
	v_lshrrev_b32_e32 v52, 16, v31
	;; [unrolled: 1-line block ×3, first 2 shown]
	s_waitcnt vmcnt(0) lgkmcnt(0)
	s_barrier
	v_cmp_lt_u32_e64 s[2:3], 19, v0
	s_movk_i32 s6, 0x258
	v_lshlrev_b32_sdwa v5, v9, v5 dst_sel:DWORD dst_unused:UNUSED_PAD src0_sel:DWORD src1_sel:BYTE_0
	v_add3_u32 v5, 0, v5, v28
	v_mul_f16_sdwa v56, v12, v55 dst_sel:DWORD dst_unused:UNUSED_PAD src0_sel:WORD_1 src1_sel:DWORD
	v_fma_f16 v56, v12, v30, v56
	v_mul_f16_sdwa v30, v12, v30 dst_sel:DWORD dst_unused:UNUSED_PAD src0_sel:WORD_1 src1_sel:DWORD
	v_fma_f16 v12, v12, v55, -v30
	v_lshrrev_b32_e32 v30, 16, v35
	v_mul_f16_sdwa v55, v13, v35 dst_sel:DWORD dst_unused:UNUSED_PAD src0_sel:WORD_1 src1_sel:DWORD
	v_fma_f16 v55, v13, v30, -v55
	v_mul_f16_sdwa v30, v13, v30 dst_sel:DWORD dst_unused:UNUSED_PAD src0_sel:WORD_1 src1_sel:DWORD
	v_fma_f16 v13, v13, v35, v30
	v_lshrrev_b32_e32 v30, 16, v36
	v_mul_f16_sdwa v35, v15, v30 dst_sel:DWORD dst_unused:UNUSED_PAD src0_sel:WORD_1 src1_sel:DWORD
	v_fma_f16 v35, v15, v36, v35
	v_mul_f16_sdwa v36, v15, v36 dst_sel:DWORD dst_unused:UNUSED_PAD src0_sel:WORD_1 src1_sel:DWORD
	v_fma_f16 v15, v15, v30, -v36
	v_mul_f16_sdwa v30, v14, v37 dst_sel:DWORD dst_unused:UNUSED_PAD src0_sel:WORD_1 src1_sel:DWORD
	v_mul_f16_sdwa v36, v14, v57 dst_sel:DWORD dst_unused:UNUSED_PAD src0_sel:WORD_1 src1_sel:DWORD
	v_fma_f16 v30, v14, v57, -v30
	v_fma_f16 v14, v14, v37, v36
	v_lshrrev_b32_e32 v57, 16, v34
	v_mul_f16_sdwa v37, v47, v16 dst_sel:DWORD dst_unused:UNUSED_PAD src0_sel:DWORD src1_sel:WORD_1
	v_fma_f16 v37, v16, v38, v37
	v_mul_f16_sdwa v38, v16, v38 dst_sel:DWORD dst_unused:UNUSED_PAD src0_sel:WORD_1 src1_sel:DWORD
	v_fma_f16 v16, v47, v16, -v38
	v_mul_f16_sdwa v38, v33, v17 dst_sel:DWORD dst_unused:UNUSED_PAD src0_sel:DWORD src1_sel:WORD_1
	v_mul_f16_sdwa v47, v53, v17 dst_sel:DWORD dst_unused:UNUSED_PAD src0_sel:DWORD src1_sel:WORD_1
	v_fma_f16 v38, v53, v17, -v38
	v_fma_f16 v17, v33, v17, v47
	v_mul_f16_sdwa v47, v57, v19 dst_sel:DWORD dst_unused:UNUSED_PAD src0_sel:DWORD src1_sel:WORD_1
	v_fma_f16 v47, v34, v19, v47
	v_mul_f16_sdwa v34, v34, v19 dst_sel:DWORD dst_unused:UNUSED_PAD src0_sel:DWORD src1_sel:WORD_1
	v_lshrrev_b32_e32 v36, 16, v39
	v_fma_f16 v19, v57, v19, -v34
	v_mul_f16_sdwa v34, v39, v18 dst_sel:DWORD dst_unused:UNUSED_PAD src0_sel:DWORD src1_sel:WORD_1
	v_lshrrev_b32_e32 v53, 16, v40
	v_fma_f16 v34, v36, v18, -v34
	v_mul_f16_sdwa v36, v36, v18 dst_sel:DWORD dst_unused:UNUSED_PAD src0_sel:DWORD src1_sel:WORD_1
	v_fma_f16 v18, v39, v18, v36
	v_mul_f16_sdwa v39, v53, v20 dst_sel:DWORD dst_unused:UNUSED_PAD src0_sel:DWORD src1_sel:WORD_1
	v_lshrrev_b32_e32 v36, 16, v49
	v_fma_f16 v39, v40, v20, v39
	v_mul_f16_sdwa v40, v40, v20 dst_sel:DWORD dst_unused:UNUSED_PAD src0_sel:DWORD src1_sel:WORD_1
	v_fma_f16 v20, v53, v20, -v40
	v_mul_f16_sdwa v40, v36, v21 dst_sel:DWORD dst_unused:UNUSED_PAD src0_sel:DWORD src1_sel:WORD_1
	v_fma_f16 v40, v49, v21, v40
	v_mul_f16_sdwa v49, v49, v21 dst_sel:DWORD dst_unused:UNUSED_PAD src0_sel:DWORD src1_sel:WORD_1
	v_fma_f16 v21, v36, v21, -v49
	v_add_f16_e32 v49, v56, v13
	v_add_f16_e32 v36, v46, v56
	v_fma_f16 v46, v49, -0.5, v46
	v_sub_f16_e32 v49, v12, v55
	v_fma_f16 v53, v49, s4, v46
	v_fma_f16 v46, v49, s5, v46
	v_add_f16_e32 v49, v50, v12
	v_add_f16_e32 v12, v12, v55
	v_add_f16_e32 v36, v36, v13
	v_add_f16_e32 v49, v49, v55
	v_fma_f16 v12, v12, -0.5, v50
	v_sub_f16_e32 v13, v56, v13
	v_add_f16_e32 v55, v14, v35
	v_fma_f16 v50, v13, s5, v12
	v_fma_f16 v12, v13, s4, v12
	v_add_f16_e32 v13, v48, v14
	v_fma_f16 v48, v55, -0.5, v48
	v_sub_f16_e32 v55, v30, v15
	v_fma_f16 v56, v55, s4, v48
	v_fma_f16 v48, v55, s5, v48
	v_add_f16_e32 v55, v51, v30
	v_add_f16_e32 v55, v55, v15
	v_add_f16_e32 v15, v30, v15
	v_add_f16_e32 v13, v13, v35
	v_fma_f16 v15, v15, -0.5, v51
	v_sub_f16_e32 v14, v14, v35
	v_add_f16_e32 v35, v37, v17
	v_fma_f16 v30, v14, s5, v15
	v_fma_f16 v14, v14, s4, v15
	;; [unrolled: 14-line block ×3, first 2 shown]
	v_add_f16_e32 v17, v32, v18
	v_fma_f16 v32, v38, -0.5, v32
	v_sub_f16_e32 v38, v34, v19
	v_fma_f16 v52, v38, s4, v32
	v_fma_f16 v32, v38, s5, v32
	v_add_f16_e32 v38, v54, v34
	v_add_f16_e32 v38, v38, v19
	;; [unrolled: 1-line block ×4, first 2 shown]
	v_fma_f16 v19, v19, -0.5, v54
	v_sub_f16_e32 v18, v18, v47
	v_add_f16_e32 v47, v39, v40
	v_lshrrev_b32_e32 v33, 16, v29
	v_fma_f16 v34, v18, s5, v19
	v_fma_f16 v18, v18, s4, v19
	v_add_f16_e32 v19, v29, v39
	v_fma_f16 v29, v47, -0.5, v29
	v_sub_f16_e32 v47, v20, v21
	v_fma_f16 v54, v47, s4, v29
	v_fma_f16 v29, v47, s5, v29
	v_add_f16_e32 v47, v33, v20
	v_add_f16_e32 v20, v20, v21
	v_pack_b32_f16 v12, v46, v12
	v_add_f16_e32 v47, v47, v21
	v_fma_f16 v20, v20, -0.5, v33
	v_sub_f16_e32 v21, v39, v40
	ds_write_b32 v1, v12 offset:400
	v_mov_b32_e32 v12, 0x258
	v_fma_f16 v33, v21, s5, v20
	v_fma_f16 v20, v21, s4, v20
	v_pack_b32_f16 v21, v36, v49
	v_pack_b32_f16 v36, v53, v50
	v_cndmask_b32_e64 v12, 0, v12, s[2:3]
	ds_write2_b32 v1, v21, v36 offset1:50
	v_add_u32_e32 v12, 0, v12
	v_lshlrev_b32_e32 v21, 2, v41
	v_add3_u32 v12, v12, v21, v28
	v_pack_b32_f16 v13, v13, v55
	v_pack_b32_f16 v21, v56, v30
	ds_write2_b32 v12, v13, v21 offset1:50
	v_pack_b32_f16 v13, v48, v14
	ds_write_b32 v12, v13 offset:400
	v_pack_b32_f16 v12, v15, v35
	v_pack_b32_f16 v13, v51, v37
	ds_write2_b32 v1, v12, v13 offset0:160 offset1:210
	v_pack_b32_f16 v12, v31, v16
	ds_write_b32 v1, v12 offset:1040
	v_mad_u32_u24 v12, v43, s6, 0
	v_lshlrev_b32_sdwa v13, v9, v44 dst_sel:DWORD dst_unused:UNUSED_PAD src0_sel:DWORD src1_sel:BYTE_0
	v_add3_u32 v12, v12, v13, v28
	v_pack_b32_f16 v13, v17, v38
	v_pack_b32_f16 v14, v52, v34
	v_add_f16_e32 v19, v19, v40
	ds_write2_b32 v12, v13, v14 offset1:50
	v_pack_b32_f16 v13, v32, v18
	ds_write_b32 v12, v13 offset:400
	v_pack_b32_f16 v9, v19, v47
	v_pack_b32_f16 v12, v54, v33
	v_add_u32_e32 v13, 0x400, v5
	ds_write2_b32 v13, v9, v12 offset0:44 offset1:94
	v_pack_b32_f16 v9, v29, v20
	ds_write_b32 v5, v9 offset:1600
	s_waitcnt lgkmcnt(0)
	s_barrier
	global_load_dwordx2 v[9:10], v[10:11], off offset:560
	v_lshlrev_b32_e32 v5, 1, v4
	v_lshlrev_b64 v[11:12], 2, v[5:6]
	v_lshlrev_b32_e32 v5, 1, v8
	v_add_co_u32_e64 v11, s[2:3], s8, v11
	v_addc_co_u32_e64 v12, s[2:3], v22, v12, s[2:3]
	global_load_dwordx2 v[11:12], v[11:12], off offset:560
	v_lshlrev_b64 v[13:14], 2, v[5:6]
	v_lshlrev_b32_e32 v5, 1, v42
	v_add_co_u32_e64 v13, s[2:3], s8, v13
	v_lshlrev_b64 v[15:16], 2, v[5:6]
	v_addc_co_u32_e64 v14, s[2:3], v22, v14, s[2:3]
	global_load_dwordx2 v[13:14], v[13:14], off offset:560
	v_add_co_u32_e64 v15, s[2:3], s8, v15
	v_lshlrev_b32_e32 v5, 1, v45
	v_addc_co_u32_e64 v16, s[2:3], v22, v16, s[2:3]
	global_load_dwordx2 v[15:16], v[15:16], off offset:560
	v_lshlrev_b64 v[17:18], 2, v[5:6]
	v_add_co_u32_e64 v17, s[2:3], s8, v17
	v_addc_co_u32_e64 v18, s[2:3], v22, v18, s[2:3]
	global_load_dwordx2 v[17:18], v[17:18], off offset:560
	ds_read_b32 v5, v23
	ds_read_u16 v8, v1 offset:842
	ds_read_b32 v36, v7
	ds_read_b32 v37, v1 offset:1680
	ds_read2_b32 v[19:20], v1 offset0:120 offset1:150
	ds_read2_b32 v[21:22], v26 offset0:44 offset1:74
	;; [unrolled: 1-line block ×6, first 2 shown]
	s_waitcnt lgkmcnt(5)
	v_lshrrev_b32_e32 v47, 16, v20
	v_lshrrev_b32_e32 v38, 16, v5
	;; [unrolled: 1-line block ×3, first 2 shown]
	s_waitcnt lgkmcnt(2)
	v_lshrrev_b32_e32 v40, 16, v30
	s_waitcnt lgkmcnt(1)
	v_lshrrev_b32_e32 v42, 16, v32
	v_lshrrev_b32_e32 v43, 16, v31
	;; [unrolled: 1-line block ×7, first 2 shown]
	s_waitcnt vmcnt(0) lgkmcnt(0)
	s_barrier
	v_cmp_ne_u32_e64 s[2:3], 0, v0
	v_mul_f16_sdwa v48, v9, v47 dst_sel:DWORD dst_unused:UNUSED_PAD src0_sel:WORD_1 src1_sel:DWORD
	v_fma_f16 v48, v9, v20, v48
	v_mul_f16_sdwa v20, v9, v20 dst_sel:DWORD dst_unused:UNUSED_PAD src0_sel:WORD_1 src1_sel:DWORD
	v_fma_f16 v9, v9, v47, -v20
	v_lshrrev_b32_e32 v20, 16, v21
	v_mul_f16_sdwa v47, v10, v20 dst_sel:DWORD dst_unused:UNUSED_PAD src0_sel:WORD_1 src1_sel:DWORD
	v_fma_f16 v47, v10, v21, v47
	v_mul_f16_sdwa v21, v10, v21 dst_sel:DWORD dst_unused:UNUSED_PAD src0_sel:WORD_1 src1_sel:DWORD
	v_fma_f16 v10, v10, v20, -v21
	v_lshrrev_b32_e32 v20, 16, v34
	;; [unrolled: 5-line block ×3, first 2 shown]
	v_mul_f16_sdwa v34, v12, v20 dst_sel:DWORD dst_unused:UNUSED_PAD src0_sel:WORD_1 src1_sel:DWORD
	v_fma_f16 v34, v12, v22, v34
	v_mul_f16_sdwa v22, v12, v22 dst_sel:DWORD dst_unused:UNUSED_PAD src0_sel:WORD_1 src1_sel:DWORD
	v_fma_f16 v12, v12, v20, -v22
	v_mul_f16_sdwa v20, v8, v13 dst_sel:DWORD dst_unused:UNUSED_PAD src0_sel:DWORD src1_sel:WORD_1
	v_mul_f16_sdwa v22, v13, v35 dst_sel:DWORD dst_unused:UNUSED_PAD src0_sel:WORD_1 src1_sel:DWORD
	v_fma_f16 v20, v13, v35, v20
	v_fma_f16 v8, v8, v13, -v22
	v_mul_f16_sdwa v13, v40, v14 dst_sel:DWORD dst_unused:UNUSED_PAD src0_sel:DWORD src1_sel:WORD_1
	v_mul_f16_sdwa v22, v30, v14 dst_sel:DWORD dst_unused:UNUSED_PAD src0_sel:DWORD src1_sel:WORD_1
	v_fma_f16 v13, v30, v14, v13
	v_fma_f16 v14, v40, v14, -v22
	v_mul_f16_sdwa v22, v42, v15 dst_sel:DWORD dst_unused:UNUSED_PAD src0_sel:DWORD src1_sel:WORD_1
	v_mul_f16_sdwa v30, v32, v15 dst_sel:DWORD dst_unused:UNUSED_PAD src0_sel:DWORD src1_sel:WORD_1
	v_fma_f16 v22, v32, v15, v22
	v_fma_f16 v15, v42, v15, -v30
	v_mul_f16_sdwa v30, v43, v16 dst_sel:DWORD dst_unused:UNUSED_PAD src0_sel:DWORD src1_sel:WORD_1
	v_fma_f16 v30, v31, v16, v30
	v_mul_f16_sdwa v31, v31, v16 dst_sel:DWORD dst_unused:UNUSED_PAD src0_sel:DWORD src1_sel:WORD_1
	v_fma_f16 v16, v43, v16, -v31
	v_mul_f16_sdwa v31, v45, v17 dst_sel:DWORD dst_unused:UNUSED_PAD src0_sel:DWORD src1_sel:WORD_1
	v_mul_f16_sdwa v32, v33, v17 dst_sel:DWORD dst_unused:UNUSED_PAD src0_sel:DWORD src1_sel:WORD_1
	v_fma_f16 v31, v33, v17, v31
	v_fma_f16 v17, v45, v17, -v32
	v_mul_f16_sdwa v32, v46, v18 dst_sel:DWORD dst_unused:UNUSED_PAD src0_sel:DWORD src1_sel:WORD_1
	v_mul_f16_sdwa v33, v37, v18 dst_sel:DWORD dst_unused:UNUSED_PAD src0_sel:DWORD src1_sel:WORD_1
	v_add_f16_e32 v35, v48, v47
	v_fma_f16 v32, v37, v18, v32
	v_fma_f16 v18, v46, v18, -v33
	v_add_f16_e32 v33, v5, v48
	v_fma_f16 v5, v35, -0.5, v5
	v_sub_f16_e32 v35, v9, v10
	v_fma_f16 v37, v35, s4, v5
	v_fma_f16 v5, v35, s5, v5
	v_add_f16_e32 v35, v38, v9
	v_add_f16_e32 v9, v9, v10
	;; [unrolled: 1-line block ×3, first 2 shown]
	v_fma_f16 v9, v9, -0.5, v38
	v_sub_f16_e32 v10, v48, v47
	v_add_f16_e32 v40, v21, v34
	v_fma_f16 v38, v10, s5, v9
	v_fma_f16 v9, v10, s4, v9
	v_add_f16_e32 v10, v36, v21
	v_fma_f16 v36, v40, -0.5, v36
	v_sub_f16_e32 v40, v11, v12
	v_fma_f16 v42, v40, s4, v36
	v_fma_f16 v36, v40, s5, v36
	v_add_f16_e32 v40, v39, v11
	v_add_f16_e32 v11, v11, v12
	;; [unrolled: 1-line block ×4, first 2 shown]
	v_fma_f16 v11, v11, -0.5, v39
	v_sub_f16_e32 v12, v21, v34
	v_add_f16_e32 v34, v20, v13
	v_fma_f16 v21, v12, s5, v11
	v_fma_f16 v11, v12, s4, v11
	v_add_f16_e32 v12, v28, v20
	v_fma_f16 v28, v34, -0.5, v28
	v_sub_f16_e32 v34, v8, v14
	v_add_f16_e32 v12, v12, v13
	v_fma_f16 v39, v34, s4, v28
	v_fma_f16 v28, v34, s5, v28
	v_add_f16_e32 v34, v27, v8
	v_add_f16_e32 v8, v8, v14
	v_sub_f16_e32 v13, v20, v13
	v_add_f16_e32 v20, v22, v30
	v_fma_f16 v8, v8, -0.5, v27
	v_fma_f16 v20, v20, -0.5, v29
	v_sub_f16_e32 v27, v15, v16
	v_add_f16_e32 v34, v34, v14
	v_fma_f16 v14, v13, s5, v8
	v_fma_f16 v8, v13, s4, v8
	v_add_f16_e32 v13, v29, v22
	v_fma_f16 v29, v27, s4, v20
	v_fma_f16 v20, v27, s5, v20
	v_add_f16_e32 v27, v41, v15
	v_add_f16_e32 v15, v15, v16
	;; [unrolled: 1-line block ×4, first 2 shown]
	v_fma_f16 v15, v15, -0.5, v41
	v_sub_f16_e32 v16, v22, v30
	v_add_f16_e32 v30, v31, v32
	v_fma_f16 v22, v16, s5, v15
	v_fma_f16 v15, v16, s4, v15
	v_add_f16_e32 v16, v19, v31
	v_fma_f16 v19, v30, -0.5, v19
	v_sub_f16_e32 v30, v17, v18
	v_fma_f16 v41, v30, s4, v19
	v_fma_f16 v19, v30, s5, v19
	v_add_f16_e32 v30, v44, v17
	v_add_f16_e32 v17, v17, v18
	;; [unrolled: 1-line block ×4, first 2 shown]
	v_fma_f16 v17, v17, -0.5, v44
	v_sub_f16_e32 v18, v31, v32
	v_fma_f16 v31, v18, s5, v17
	v_fma_f16 v17, v18, s4, v17
	v_pack_b32_f16 v18, v33, v35
	v_pack_b32_f16 v5, v5, v9
	ds_write_b32 v1, v18
	v_pack_b32_f16 v18, v37, v38
	ds_write_b32 v1, v5 offset:1200
	v_pack_b32_f16 v5, v10, v40
	v_pack_b32_f16 v9, v42, v21
	ds_write_b32 v1, v18 offset:600
	ds_write2_b32 v7, v5, v9 offset1:150
	v_pack_b32_f16 v5, v36, v11
	ds_write_b32 v7, v5 offset:1200
	v_pack_b32_f16 v5, v12, v34
	v_pack_b32_f16 v9, v13, v27
	;; [unrolled: 1-line block ×3, first 2 shown]
	ds_write2_b32 v1, v5, v9 offset0:60 offset1:90
	v_pack_b32_f16 v5, v29, v22
	v_add_f16_e32 v16, v16, v32
	v_pack_b32_f16 v8, v28, v8
	ds_write2_b32 v1, v7, v5 offset0:210 offset1:240
	v_pack_b32_f16 v5, v20, v15
	ds_write2_b32 v26, v8, v5 offset0:104 offset1:134
	v_pack_b32_f16 v5, v16, v30
	ds_write_b32 v1, v5 offset:480
	v_pack_b32_f16 v5, v41, v31
	ds_write_b32 v1, v5 offset:1080
	;; [unrolled: 2-line block ×3, first 2 shown]
	s_waitcnt lgkmcnt(0)
	s_barrier
	ds_read_b32 v5, v23
	v_sub_u32_e32 v9, v25, v24
                                        ; implicit-def: $vgpr12
                                        ; implicit-def: $vgpr10
                                        ; implicit-def: $vgpr11
                                        ; implicit-def: $vgpr7_vgpr8
	s_and_saveexec_b64 s[4:5], s[2:3]
	s_xor_b64 s[4:5], exec, s[4:5]
	s_cbranch_execz .LBB0_17
; %bb.16:
	v_mov_b32_e32 v1, v6
	v_lshlrev_b64 v[6:7], 2, v[0:1]
	v_mov_b32_e32 v8, s9
	v_add_co_u32_e64 v6, s[2:3], s8, v6
	v_addc_co_u32_e64 v7, s[2:3], v8, v7, s[2:3]
	global_load_dword v6, v[6:7], off offset:1760
	ds_read_b32 v7, v9 offset:1800
	s_waitcnt lgkmcnt(0)
	v_add_f16_sdwa v10, v7, v5 dst_sel:DWORD dst_unused:UNUSED_PAD src0_sel:WORD_1 src1_sel:WORD_1
	v_sub_f16_e32 v11, v5, v7
	v_add_f16_e32 v8, v7, v5
	v_sub_f16_sdwa v5, v5, v7 dst_sel:DWORD dst_unused:UNUSED_PAD src0_sel:WORD_1 src1_sel:WORD_1
	v_mul_f16_e32 v7, 0.5, v10
	v_mul_f16_e32 v10, 0.5, v11
	;; [unrolled: 1-line block ×3, first 2 shown]
	s_waitcnt vmcnt(0)
	v_lshrrev_b32_e32 v11, 16, v6
	v_mul_f16_e32 v12, v11, v10
	v_fma_f16 v13, v7, v11, v5
	v_fma_f16 v5, v7, v11, -v5
	v_fma_f16 v14, v8, 0.5, v12
	v_fma_f16 v8, v8, 0.5, -v12
	v_fma_f16 v11, -v6, v10, v13
	v_fma_f16 v12, -v6, v10, v5
	v_fma_f16 v5, v6, v7, v14
	v_fma_f16 v10, -v6, v7, v8
	v_mov_b32_e32 v8, v1
	ds_write_b16 v23, v5
	v_mov_b32_e32 v7, v0
                                        ; implicit-def: $vgpr5
.LBB0_17:
	s_andn2_saveexec_b64 s[2:3], s[4:5]
	s_cbranch_execz .LBB0_19
; %bb.18:
	ds_read_u16 v1, v25 offset:902
	v_mov_b32_e32 v7, 0
	s_waitcnt lgkmcnt(1)
	v_add_f16_sdwa v6, v5, v5 dst_sel:DWORD dst_unused:UNUSED_PAD src0_sel:WORD_1 src1_sel:DWORD
	v_sub_f16_sdwa v10, v5, v5 dst_sel:DWORD dst_unused:UNUSED_PAD src0_sel:DWORD src1_sel:WORD_1
	v_mov_b32_e32 v8, 0
	s_waitcnt lgkmcnt(0)
	v_xor_b32_e32 v1, 0x8000, v1
	v_mov_b32_e32 v11, 0
	v_mov_b32_e32 v12, 0
	ds_write_b16 v23, v6
	ds_write_b16 v25, v1 offset:902
.LBB0_19:
	s_or_b64 exec, exec, s[2:3]
	s_waitcnt lgkmcnt(0)
	v_mov_b32_e32 v5, 0
	v_lshlrev_b64 v[5:6], 2, v[4:5]
	v_mov_b32_e32 v1, s9
	v_add_co_u32_e64 v5, s[2:3], s8, v5
	v_addc_co_u32_e64 v6, s[2:3], v1, v6, s[2:3]
	global_load_dword v1, v[5:6], off offset:1760
	s_add_u32 s2, s8, 0x6e0
	v_lshlrev_b64 v[5:6], 2, v[7:8]
	s_addc_u32 s3, s9, 0
	v_mov_b32_e32 v8, s3
	v_add_co_u32_e64 v7, s[2:3], s2, v5
	v_addc_co_u32_e64 v8, s[2:3], v8, v6, s[2:3]
	global_load_dword v13, v[7:8], off offset:240
	global_load_dword v14, v[7:8], off offset:360
	s_mov_b32 s2, 0x5040100
	v_perm_b32 v10, v12, v10, s2
	ds_write_b16 v23, v11 offset:2
	v_lshl_add_u32 v4, v4, 2, v25
	ds_write_b32 v9, v10 offset:1800
	global_load_dword v12, v[7:8], off offset:480
	ds_read_b32 v11, v9 offset:1680
	ds_read_b32 v10, v4
	s_mov_b32 s4, 0xffff
	s_waitcnt lgkmcnt(0)
	v_pk_add_f16 v15, v10, v11 neg_lo:[0,1] neg_hi:[0,1]
	v_pk_add_f16 v10, v10, v11
	v_bfi_b32 v11, s4, v15, v10
	v_bfi_b32 v10, s4, v10, v15
	v_pk_mul_f16 v11, v11, 0.5 op_sel_hi:[1,0]
	v_pk_mul_f16 v10, v10, 0.5 op_sel_hi:[1,0]
	s_waitcnt vmcnt(3)
	v_pk_fma_f16 v15, v1, v11, v10 op_sel:[1,0,0]
	v_pk_mul_f16 v16, v1, v11 op_sel_hi:[0,1]
	v_pk_fma_f16 v17, v1, v11, v10 op_sel:[1,0,0] neg_lo:[1,0,0] neg_hi:[1,0,0]
	v_pk_fma_f16 v1, v1, v11, v10 op_sel:[1,0,0] neg_lo:[0,0,1] neg_hi:[0,0,1]
	v_pk_add_f16 v10, v15, v16 op_sel:[0,1] op_sel_hi:[1,0]
	v_pk_add_f16 v11, v15, v16 op_sel:[0,1] op_sel_hi:[1,0] neg_lo:[0,1] neg_hi:[0,1]
	v_pk_add_f16 v15, v17, v16 op_sel:[0,1] op_sel_hi:[1,0] neg_lo:[0,1] neg_hi:[0,1]
	;; [unrolled: 1-line block ×3, first 2 shown]
	v_bfi_b32 v10, s4, v10, v11
	v_bfi_b32 v1, s4, v15, v1
	ds_write_b32 v4, v10
	ds_write_b32 v9, v1 offset:1680
	ds_read_b32 v1, v23 offset:240
	ds_read_b32 v4, v9 offset:1560
	global_load_dword v10, v[7:8], off offset:600
	global_load_dword v11, v[7:8], off offset:720
	s_waitcnt lgkmcnt(0)
	v_pk_add_f16 v15, v1, v4 neg_lo:[0,1] neg_hi:[0,1]
	v_pk_add_f16 v1, v1, v4
	v_bfi_b32 v4, s4, v15, v1
	v_bfi_b32 v1, s4, v1, v15
	v_pk_mul_f16 v4, v4, 0.5 op_sel_hi:[1,0]
	v_pk_mul_f16 v1, v1, 0.5 op_sel_hi:[1,0]
	s_waitcnt vmcnt(4)
	v_pk_fma_f16 v15, v13, v4, v1 op_sel:[1,0,0]
	v_pk_mul_f16 v16, v13, v4 op_sel_hi:[0,1]
	v_pk_fma_f16 v17, v13, v4, v1 op_sel:[1,0,0] neg_lo:[1,0,0] neg_hi:[1,0,0]
	v_pk_fma_f16 v1, v13, v4, v1 op_sel:[1,0,0] neg_lo:[0,0,1] neg_hi:[0,0,1]
	v_pk_add_f16 v4, v15, v16 op_sel:[0,1] op_sel_hi:[1,0]
	v_pk_add_f16 v13, v15, v16 op_sel:[0,1] op_sel_hi:[1,0] neg_lo:[0,1] neg_hi:[0,1]
	v_pk_add_f16 v15, v17, v16 op_sel:[0,1] op_sel_hi:[1,0] neg_lo:[0,1] neg_hi:[0,1]
	v_pk_add_f16 v1, v1, v16 op_sel:[0,1] op_sel_hi:[1,0] neg_lo:[0,1] neg_hi:[0,1]
	v_bfi_b32 v4, s4, v4, v13
	v_bfi_b32 v1, s4, v15, v1
	ds_write_b32 v23, v4 offset:240
	ds_write_b32 v9, v1 offset:1560
	ds_read_b32 v1, v23 offset:360
	ds_read_b32 v4, v9 offset:1440
	s_waitcnt lgkmcnt(0)
	v_pk_add_f16 v13, v1, v4 neg_lo:[0,1] neg_hi:[0,1]
	v_pk_add_f16 v1, v1, v4
	v_bfi_b32 v4, s4, v13, v1
	v_bfi_b32 v1, s4, v1, v13
	v_pk_mul_f16 v4, v4, 0.5 op_sel_hi:[1,0]
	v_pk_mul_f16 v1, v1, 0.5 op_sel_hi:[1,0]
	s_waitcnt vmcnt(3)
	v_pk_fma_f16 v13, v14, v4, v1 op_sel:[1,0,0]
	v_pk_mul_f16 v15, v14, v4 op_sel_hi:[0,1]
	v_pk_fma_f16 v16, v14, v4, v1 op_sel:[1,0,0] neg_lo:[1,0,0] neg_hi:[1,0,0]
	v_pk_fma_f16 v1, v14, v4, v1 op_sel:[1,0,0] neg_lo:[0,0,1] neg_hi:[0,0,1]
	v_pk_add_f16 v4, v13, v15 op_sel:[0,1] op_sel_hi:[1,0]
	v_pk_add_f16 v13, v13, v15 op_sel:[0,1] op_sel_hi:[1,0] neg_lo:[0,1] neg_hi:[0,1]
	v_pk_add_f16 v14, v16, v15 op_sel:[0,1] op_sel_hi:[1,0] neg_lo:[0,1] neg_hi:[0,1]
	v_pk_add_f16 v1, v1, v15 op_sel:[0,1] op_sel_hi:[1,0] neg_lo:[0,1] neg_hi:[0,1]
	v_bfi_b32 v4, s4, v4, v13
	v_bfi_b32 v1, s4, v14, v1
	ds_write_b32 v23, v4 offset:360
	ds_write_b32 v9, v1 offset:1440
	ds_read_b32 v1, v23 offset:480
	ds_read_b32 v4, v9 offset:1320
	;; [unrolled: 22-line block ×4, first 2 shown]
	s_waitcnt lgkmcnt(0)
	v_pk_add_f16 v10, v1, v4 neg_lo:[0,1] neg_hi:[0,1]
	v_pk_add_f16 v1, v1, v4
	v_bfi_b32 v4, s4, v10, v1
	v_bfi_b32 v1, s4, v1, v10
	v_pk_mul_f16 v4, v4, 0.5 op_sel_hi:[1,0]
	v_pk_mul_f16 v1, v1, 0.5 op_sel_hi:[1,0]
	s_waitcnt vmcnt(0)
	v_pk_fma_f16 v10, v11, v4, v1 op_sel:[1,0,0]
	v_pk_mul_f16 v12, v11, v4 op_sel_hi:[0,1]
	v_pk_fma_f16 v13, v11, v4, v1 op_sel:[1,0,0] neg_lo:[1,0,0] neg_hi:[1,0,0]
	v_pk_fma_f16 v1, v11, v4, v1 op_sel:[1,0,0] neg_lo:[0,0,1] neg_hi:[0,0,1]
	v_pk_add_f16 v4, v10, v12 op_sel:[0,1] op_sel_hi:[1,0]
	v_pk_add_f16 v10, v10, v12 op_sel:[0,1] op_sel_hi:[1,0] neg_lo:[0,1] neg_hi:[0,1]
	v_pk_add_f16 v11, v13, v12 op_sel:[0,1] op_sel_hi:[1,0] neg_lo:[0,1] neg_hi:[0,1]
	;; [unrolled: 1-line block ×3, first 2 shown]
	v_bfi_b32 v4, s4, v4, v10
	v_bfi_b32 v1, s4, v11, v1
	ds_write_b32 v23, v4 offset:720
	ds_write_b32 v9, v1 offset:1080
	s_and_saveexec_b64 s[2:3], s[0:1]
	s_cbranch_execz .LBB0_21
; %bb.20:
	global_load_dword v1, v[7:8], off offset:840
	ds_read_b32 v4, v23 offset:840
	ds_read_b32 v7, v9 offset:960
	s_waitcnt lgkmcnt(0)
	v_pk_add_f16 v8, v4, v7 neg_lo:[0,1] neg_hi:[0,1]
	v_pk_add_f16 v4, v4, v7
	v_bfi_b32 v7, s4, v8, v4
	v_bfi_b32 v4, s4, v4, v8
	v_pk_mul_f16 v7, v7, 0.5 op_sel_hi:[1,0]
	v_pk_mul_f16 v4, v4, 0.5 op_sel_hi:[1,0]
	s_waitcnt vmcnt(0)
	v_pk_fma_f16 v8, v1, v7, v4 op_sel:[1,0,0]
	v_pk_mul_f16 v10, v1, v7 op_sel_hi:[0,1]
	v_pk_fma_f16 v11, v1, v7, v4 op_sel:[1,0,0] neg_lo:[1,0,0] neg_hi:[1,0,0]
	v_pk_fma_f16 v1, v1, v7, v4 op_sel:[1,0,0] neg_lo:[0,0,1] neg_hi:[0,0,1]
	v_pk_add_f16 v4, v8, v10 op_sel:[0,1] op_sel_hi:[1,0]
	v_pk_add_f16 v7, v8, v10 op_sel:[0,1] op_sel_hi:[1,0] neg_lo:[0,1] neg_hi:[0,1]
	v_pk_add_f16 v8, v11, v10 op_sel:[0,1] op_sel_hi:[1,0] neg_lo:[0,1] neg_hi:[0,1]
	;; [unrolled: 1-line block ×3, first 2 shown]
	v_bfi_b32 v4, s4, v4, v7
	v_bfi_b32 v1, s4, v8, v1
	ds_write_b32 v23, v4 offset:840
	ds_write_b32 v9, v1 offset:960
.LBB0_21:
	s_or_b64 exec, exec, s[2:3]
	s_waitcnt lgkmcnt(0)
	s_barrier
	s_and_saveexec_b64 s[0:1], vcc
	s_cbranch_execz .LBB0_24
; %bb.22:
	ds_read2_b32 v[7:8], v23 offset1:30
	v_mov_b32_e32 v4, s13
	v_add_co_u32_e32 v1, vcc, s12, v2
	v_addc_co_u32_e32 v2, vcc, v4, v3, vcc
	ds_read2_b32 v[3:4], v23 offset0:60 offset1:90
	v_add_co_u32_e32 v5, vcc, v1, v5
	v_addc_co_u32_e32 v6, vcc, v2, v6, vcc
	s_waitcnt lgkmcnt(1)
	global_store_dword v[5:6], v7, off
	ds_read2_b32 v[9:10], v23 offset0:120 offset1:150
	global_store_dword v[5:6], v8, off offset:120
	s_waitcnt lgkmcnt(1)
	global_store_dword v[5:6], v3, off offset:240
	global_store_dword v[5:6], v4, off offset:360
	ds_read2_b32 v[3:4], v23 offset0:180 offset1:210
	s_waitcnt lgkmcnt(1)
	global_store_dword v[5:6], v9, off offset:480
	global_store_dword v[5:6], v10, off offset:600
	v_add_u32_e32 v7, 0x200, v23
	ds_read2_b32 v[7:8], v7 offset0:112 offset1:142
	s_waitcnt lgkmcnt(1)
	global_store_dword v[5:6], v3, off offset:720
	global_store_dword v[5:6], v4, off offset:840
	v_add_u32_e32 v9, 0x400, v23
	ds_read2_b32 v[3:4], v9 offset0:44 offset1:74
	ds_read2_b32 v[9:10], v9 offset0:104 offset1:134
	s_waitcnt lgkmcnt(2)
	global_store_dword v[5:6], v7, off offset:960
	ds_read_b32 v7, v23 offset:1680
	v_cmp_eq_u32_e32 vcc, 29, v0
	global_store_dword v[5:6], v8, off offset:1080
	s_waitcnt lgkmcnt(2)
	global_store_dword v[5:6], v3, off offset:1200
	global_store_dword v[5:6], v4, off offset:1320
	s_waitcnt lgkmcnt(1)
	global_store_dword v[5:6], v9, off offset:1440
	;; [unrolled: 3-line block ×3, first 2 shown]
	s_and_b64 exec, exec, vcc
	s_cbranch_execz .LBB0_24
; %bb.23:
	ds_read_b32 v0, v23 offset:1684
	s_waitcnt lgkmcnt(0)
	global_store_dword v[1:2], v0, off offset:1800
.LBB0_24:
	s_endpgm
	.section	.rodata,"a",@progbits
	.p2align	6, 0x0
	.amdhsa_kernel fft_rtc_back_len450_factors_10_5_3_3_wgs_120_tpt_30_halfLds_half_ip_CI_unitstride_sbrr_R2C_dirReg
		.amdhsa_group_segment_fixed_size 0
		.amdhsa_private_segment_fixed_size 0
		.amdhsa_kernarg_size 88
		.amdhsa_user_sgpr_count 6
		.amdhsa_user_sgpr_private_segment_buffer 1
		.amdhsa_user_sgpr_dispatch_ptr 0
		.amdhsa_user_sgpr_queue_ptr 0
		.amdhsa_user_sgpr_kernarg_segment_ptr 1
		.amdhsa_user_sgpr_dispatch_id 0
		.amdhsa_user_sgpr_flat_scratch_init 0
		.amdhsa_user_sgpr_private_segment_size 0
		.amdhsa_uses_dynamic_stack 0
		.amdhsa_system_sgpr_private_segment_wavefront_offset 0
		.amdhsa_system_sgpr_workgroup_id_x 1
		.amdhsa_system_sgpr_workgroup_id_y 0
		.amdhsa_system_sgpr_workgroup_id_z 0
		.amdhsa_system_sgpr_workgroup_info 0
		.amdhsa_system_vgpr_workitem_id 0
		.amdhsa_next_free_vgpr 60
		.amdhsa_next_free_sgpr 22
		.amdhsa_reserve_vcc 1
		.amdhsa_reserve_flat_scratch 0
		.amdhsa_float_round_mode_32 0
		.amdhsa_float_round_mode_16_64 0
		.amdhsa_float_denorm_mode_32 3
		.amdhsa_float_denorm_mode_16_64 3
		.amdhsa_dx10_clamp 1
		.amdhsa_ieee_mode 1
		.amdhsa_fp16_overflow 0
		.amdhsa_exception_fp_ieee_invalid_op 0
		.amdhsa_exception_fp_denorm_src 0
		.amdhsa_exception_fp_ieee_div_zero 0
		.amdhsa_exception_fp_ieee_overflow 0
		.amdhsa_exception_fp_ieee_underflow 0
		.amdhsa_exception_fp_ieee_inexact 0
		.amdhsa_exception_int_div_zero 0
	.end_amdhsa_kernel
	.text
.Lfunc_end0:
	.size	fft_rtc_back_len450_factors_10_5_3_3_wgs_120_tpt_30_halfLds_half_ip_CI_unitstride_sbrr_R2C_dirReg, .Lfunc_end0-fft_rtc_back_len450_factors_10_5_3_3_wgs_120_tpt_30_halfLds_half_ip_CI_unitstride_sbrr_R2C_dirReg
                                        ; -- End function
	.section	.AMDGPU.csdata,"",@progbits
; Kernel info:
; codeLenInByte = 10444
; NumSgprs: 26
; NumVgprs: 60
; ScratchSize: 0
; MemoryBound: 0
; FloatMode: 240
; IeeeMode: 1
; LDSByteSize: 0 bytes/workgroup (compile time only)
; SGPRBlocks: 3
; VGPRBlocks: 14
; NumSGPRsForWavesPerEU: 26
; NumVGPRsForWavesPerEU: 60
; Occupancy: 4
; WaveLimiterHint : 1
; COMPUTE_PGM_RSRC2:SCRATCH_EN: 0
; COMPUTE_PGM_RSRC2:USER_SGPR: 6
; COMPUTE_PGM_RSRC2:TRAP_HANDLER: 0
; COMPUTE_PGM_RSRC2:TGID_X_EN: 1
; COMPUTE_PGM_RSRC2:TGID_Y_EN: 0
; COMPUTE_PGM_RSRC2:TGID_Z_EN: 0
; COMPUTE_PGM_RSRC2:TIDIG_COMP_CNT: 0
	.type	__hip_cuid_84ad78014380a0d5,@object ; @__hip_cuid_84ad78014380a0d5
	.section	.bss,"aw",@nobits
	.globl	__hip_cuid_84ad78014380a0d5
__hip_cuid_84ad78014380a0d5:
	.byte	0                               ; 0x0
	.size	__hip_cuid_84ad78014380a0d5, 1

	.ident	"AMD clang version 19.0.0git (https://github.com/RadeonOpenCompute/llvm-project roc-6.4.0 25133 c7fe45cf4b819c5991fe208aaa96edf142730f1d)"
	.section	".note.GNU-stack","",@progbits
	.addrsig
	.addrsig_sym __hip_cuid_84ad78014380a0d5
	.amdgpu_metadata
---
amdhsa.kernels:
  - .args:
      - .actual_access:  read_only
        .address_space:  global
        .offset:         0
        .size:           8
        .value_kind:     global_buffer
      - .offset:         8
        .size:           8
        .value_kind:     by_value
      - .actual_access:  read_only
        .address_space:  global
        .offset:         16
        .size:           8
        .value_kind:     global_buffer
      - .actual_access:  read_only
        .address_space:  global
        .offset:         24
        .size:           8
        .value_kind:     global_buffer
      - .offset:         32
        .size:           8
        .value_kind:     by_value
      - .actual_access:  read_only
        .address_space:  global
        .offset:         40
        .size:           8
        .value_kind:     global_buffer
      - .actual_access:  read_only
        .address_space:  global
        .offset:         48
        .size:           8
        .value_kind:     global_buffer
      - .offset:         56
        .size:           4
        .value_kind:     by_value
      - .actual_access:  read_only
        .address_space:  global
        .offset:         64
        .size:           8
        .value_kind:     global_buffer
      - .actual_access:  read_only
        .address_space:  global
        .offset:         72
        .size:           8
        .value_kind:     global_buffer
      - .address_space:  global
        .offset:         80
        .size:           8
        .value_kind:     global_buffer
    .group_segment_fixed_size: 0
    .kernarg_segment_align: 8
    .kernarg_segment_size: 88
    .language:       OpenCL C
    .language_version:
      - 2
      - 0
    .max_flat_workgroup_size: 120
    .name:           fft_rtc_back_len450_factors_10_5_3_3_wgs_120_tpt_30_halfLds_half_ip_CI_unitstride_sbrr_R2C_dirReg
    .private_segment_fixed_size: 0
    .sgpr_count:     26
    .sgpr_spill_count: 0
    .symbol:         fft_rtc_back_len450_factors_10_5_3_3_wgs_120_tpt_30_halfLds_half_ip_CI_unitstride_sbrr_R2C_dirReg.kd
    .uniform_work_group_size: 1
    .uses_dynamic_stack: false
    .vgpr_count:     60
    .vgpr_spill_count: 0
    .wavefront_size: 64
amdhsa.target:   amdgcn-amd-amdhsa--gfx906
amdhsa.version:
  - 1
  - 2
...

	.end_amdgpu_metadata
